;; amdgpu-corpus repo=ROCm/aiter kind=harvested arch=n/a opt=n/a

/root/src/amdgpu-assembly/repos/ROCm__aiter/hsa/gfx950/f4gemm/f4gemm_bf16_per1x32Fp4_BpreShuffle_96x512.co:	file format elf64-amdgpu

Disassembly of section .text:

0000000000002c00 <_ZN5aiter41f4gemm_bf16_per1x32Fp4_BpreShuffle_96x512E>:
	s_and_b32 s1, s1, 0xffff                                   // 000000002C00: 8601FF01 0000FFFF
	s_load_dwordx2 s[4:5], s[0:1], 0x0                         // 000000002C08: C0060100 00000000
	s_load_dwordx2 s[8:9], s[0:1], 0x10                        // 000000002C10: C0060200 00000010
	s_load_dwordx2 s[12:13], s[0:1], 0x20                      // 000000002C18: C0060300 00000020
	s_load_dwordx2 s[16:17], s[0:1], 0x30                      // 000000002C20: C0060400 00000030
	s_load_dword s41, s[0:1], 0x40                             // 000000002C28: C0020A40 00000040
	s_load_dword s42, s[0:1], 0x50                             // 000000002C30: C0020A80 00000050
	s_load_dword s36, s[0:1], 0x80                             // 000000002C38: C0020900 00000080
	s_load_dword s37, s[0:1], 0xa0                             // 000000002C40: C0020940 000000A0
	s_load_dword s38, s[0:1], 0xc0                             // 000000002C48: C0020980 000000C0
	s_load_dword s43, s[0:1], 0xe0                             // 000000002C50: C0020AC0 000000E0
	s_load_dword s44, s[0:1], 0xf0                             // 000000002C58: C0020B00 000000F0
	s_load_dword s45, s[0:1], 0x100                            // 000000002C60: C0020B40 00000100
	s_load_dwordx2 s[20:21], s[0:1], 0x110                     // 000000002C68: C0060500 00000110
	s_load_dwordx2 s[24:25], s[0:1], 0x120                     // 000000002C70: C0060600 00000120
	s_load_dword s39, s[0:1], 0x130                            // 000000002C78: C00209C0 00000130
	s_load_dword s40, s[0:1], 0x150                            // 000000002C80: C0020A00 00000150
	v_lshrrev_b32_e32 v1, 10, v0                               // 000000002C88: 2002008A
	v_lshrrev_b32_e32 v2, 10, v1                               // 000000002C8C: 2004028A
	v_and_b32_e32 v2, 0x3ff, v2                                // 000000002C90: 260404FF 000003FF
	v_and_b32_e32 v1, 0x3ff, v1                                // 000000002C98: 260202FF 000003FF
	v_and_b32_e32 v0, 0x3ff, v0                                // 000000002CA0: 260000FF 000003FF
	v_lshrrev_b32_e32 v3, 6, v0                                // 000000002CA8: 20060086
	v_and_b32_e32 v0, 63, v0                                   // 000000002CAC: 260000BF
	s_mov_b32 s47, s2                                          // 000000002CB0: BEAF0002
	s_mov_b32 s48, s3                                          // 000000002CB4: BEB00003
	v_readfirstlane_b32 s46, v3                                // 000000002CB8: 7E5C0503
	s_waitcnt lgkmcnt(0)                                       // 000000002CBC: BF8CC07F
	s_add_u32 s51, s44, 0x1ff                                  // 000000002CC0: 8033FF2C 000001FF
	s_lshr_b32 s50, s51, 9                                     // 000000002CC8: 8F328933
	s_mul_i32 s49, s50, s48                                    // 000000002CCC: 92313032
	s_add_i32 s49, s49, s47                                    // 000000002CD0: 81312F31
	s_add_u32 s51, s43, 0x5f                                   // 000000002CD4: 8033FF2B 0000005F
	s_mov_b32 s63, 0x60                                        // 000000002CDC: BEBF00FF 00000060
	v_cvt_f32_u32_e32 v4, s63                                  // 000000002CE4: 7E080C3F
	s_sub_i32 s62, 0, s63                                      // 000000002CE8: 81BE3F80
	v_rcp_iflag_f32_e32 v4, v4                                 // 000000002CEC: 7E084704
	s_nop 0                                                    // 000000002CF0: BF800000
	v_mul_f32_e32 v4, 0x4f7ffffe, v4                           // 000000002CF4: 0A0808FF 4F7FFFFE
	v_cvt_u32_f32_e32 v4, v4                                   // 000000002CFC: 7E080F04
	v_mul_lo_u32 v5, s62, v4                                   // 000000002D00: D2850005 0002083E
	v_mul_hi_u32 v5, v4, v5                                    // 000000002D08: D2860005 00020B04
	v_add_u32_e32 v4, v4, v5                                   // 000000002D10: 68080B04
	v_mul_hi_u32 v4, s51, v4                                   // 000000002D14: D2860004 00020833
	v_mul_lo_u32 v5, v4, s63                                   // 000000002D1C: D2850005 00007F04
	v_sub_u32_e32 v7, s51, v5                                  // 000000002D24: 6A0E0A33
	v_add_u32_e32 v6, 1, v4                                    // 000000002D28: 680C0881
	v_cmp_le_u32_e32 vcc, s63, v7                              // 000000002D2C: 7D960E3F
	v_subrev_u32_e32 v5, s63, v7                               // 000000002D30: 6C0A0E3F
	s_nop 0                                                    // 000000002D34: BF800000
	v_cndmask_b32_e32 v4, v4, v6, vcc                          // 000000002D38: 00080D04
	v_cndmask_b32_e32 v7, v7, v5, vcc                          // 000000002D3C: 000E0B07
	v_add_u32_e32 v5, 1, v4                                    // 000000002D40: 680A0881
	v_cmp_le_u32_e32 vcc, s63, v7                              // 000000002D44: 7D960E3F
	s_nop 1                                                    // 000000002D48: BF800001
	v_cndmask_b32_e32 v7, v4, v5, vcc                          // 000000002D4C: 000E0B04
	s_nop 3                                                    // 000000002D50: BF800003
	v_readfirstlane_b32 s62, v7                                // 000000002D54: 7E7C0507
	s_nop 3                                                    // 000000002D58: BF800003
	s_lshl_b32 s62, s62, 5                                     // 000000002D5C: 8E3E853E
	s_mov_b32 s47, 0                                           // 000000002D60: BEAF0080

0000000000002d64 <label_0059>:
	s_cmp_lt_i32 s49, s62                                      // 000000002D64: BF043E31
	s_cbranch_scc1 label_005E                                  // 000000002D68: BF850003
	s_sub_i32 s49, s49, s62                                    // 000000002D6C: 81B13E31
	s_add_i32 s47, s47, 32                                     // 000000002D70: 812FA02F
	s_branch label_0059                                        // 000000002D74: BF82FFFB

0000000000002d78 <label_005E>:
	s_sub_i32 s50, s50, s47                                    // 000000002D78: 81B22F32
	s_cmp_lt_i32 s50, 32                                       // 000000002D7C: BF04A032
	s_cbranch_scc1 label_0064                                  // 000000002D80: BF850003
	s_lshr_b32 s48, s49, 5                                     // 000000002D84: 8F308531
	s_and_b32 s62, s49, 31                                     // 000000002D88: 863E9F31
	s_branch label_0084                                        // 000000002D8C: BF820020

0000000000002d90 <label_0064>:
	v_cvt_f32_u32_e32 v4, s50                                  // 000000002D90: 7E080C32
	s_sub_i32 s48, 0, s50                                      // 000000002D94: 81B03280
	v_rcp_iflag_f32_e32 v4, v4                                 // 000000002D98: 7E084704
	s_nop 0                                                    // 000000002D9C: BF800000
	v_mul_f32_e32 v4, 0x4f7ffffe, v4                           // 000000002DA0: 0A0808FF 4F7FFFFE
	v_cvt_u32_f32_e32 v4, v4                                   // 000000002DA8: 7E080F04
	v_mul_lo_u32 v5, s48, v4                                   // 000000002DAC: D2850005 00020830
	v_mul_hi_u32 v5, v4, v5                                    // 000000002DB4: D2860005 00020B04
	v_add_u32_e32 v4, v4, v5                                   // 000000002DBC: 68080B04
	v_mul_hi_u32 v4, s49, v4                                   // 000000002DC0: D2860004 00020831
	v_mul_lo_u32 v5, v4, s50                                   // 000000002DC8: D2850005 00006504
	v_sub_u32_e32 v7, s49, v5                                  // 000000002DD0: 6A0E0A31
	v_add_u32_e32 v6, 1, v4                                    // 000000002DD4: 680C0881
	v_cmp_le_u32_e32 vcc, s50, v7                              // 000000002DD8: 7D960E32
	v_subrev_u32_e32 v5, s50, v7                               // 000000002DDC: 6C0A0E32
	s_nop 0                                                    // 000000002DE0: BF800000
	v_cndmask_b32_e32 v4, v4, v6, vcc                          // 000000002DE4: 00080D04
	v_cndmask_b32_e32 v7, v7, v5, vcc                          // 000000002DE8: 000E0B07
	v_add_u32_e32 v5, 1, v4                                    // 000000002DEC: 680A0881
	v_cmp_le_u32_e32 vcc, s50, v7                              // 000000002DF0: 7D960E32
	s_nop 1                                                    // 000000002DF4: BF800001
	v_cndmask_b32_e32 v7, v4, v5, vcc                          // 000000002DF8: 000E0B04
	s_nop 3                                                    // 000000002DFC: BF800003
	v_readfirstlane_b32 s48, v7                                // 000000002E00: 7E600507
	s_nop 3                                                    // 000000002E04: BF800003
	s_mul_i32 s62, s50, s48                                    // 000000002E08: 923E3032
	s_sub_i32 s62, s49, s62                                    // 000000002E0C: 81BE3E31

0000000000002e10 <label_0084>:
	s_add_i32 s47, s62, s47                                    // 000000002E10: 812F2F3E
	s_lshr_b32 s37, s37, 1                                     // 000000002E14: 8F258125
	s_mul_i32 s62, s48, 0x60                                   // 000000002E18: 923EFF30 00000060
	s_mul_hi_u32 s63, s37, s62                                 // 000000002E20: 963F3E25
	s_add_u32 s13, s13, s63                                    // 000000002E24: 800D3F0D
	s_mul_i32 s63, s37, s62                                    // 000000002E28: 923F3E25
	s_add_u32 s12, s12, s63                                    // 000000002E2C: 800C3F0C
	s_addc_u32 s13, s13, 0                                     // 000000002E30: 820D800D
	s_sub_i32 s63, s43, s62                                    // 000000002E34: 81BF3E2B
	s_cmp_lt_u32 s63, 0x60                                     // 000000002E38: BF0AFF3F 00000060
	s_cselect_b32 s62, s63, 0x60                               // 000000002E40: 853EFF3F 00000060
	s_mul_i32 s14, s37, s62                                    // 000000002E48: 920E3E25
	s_mov_b32 s15, 0x20000                                     // 000000002E4C: BE8F00FF 00020000
	v_lshrrev_b32_e32 v4, 3, v0                                // 000000002E54: 20080083
	v_lshrrev_b32_e32 v5, 2, v4                                // 000000002E58: 200A0882
	v_lshlrev_b32_e32 v5, 4, v5                                // 000000002E5C: 240A0A84
	v_and_b32_e32 v4, 3, v4                                    // 000000002E60: 26080883
	v_lshrrev_b32_e32 v6, 1, v4                                // 000000002E64: 200C0881
	v_lshlrev_b32_e32 v6, 2, v6                                // 000000002E68: 240C0C82
	v_add_u32_e32 v5, v5, v6                                   // 000000002E6C: 680A0D05
	v_and_b32_e32 v4, 1, v4                                    // 000000002E70: 26080881
	v_add_u32_e32 v5, v5, v4                                   // 000000002E74: 680A0905
	v_mul_lo_u32 v178, s37, v5                                 // 000000002E78: D28500B2 00020A25
	v_and_b32_e32 v4, 7, v0                                    // 000000002E80: 26080087
	v_lshlrev_b32_e32 v4, 4, v4                                // 000000002E84: 24080884
	v_add_u32_e32 v178, v4, v178                               // 000000002E88: 69656504
	s_lshr_b32 s62, s46, 1                                     // 000000002E8C: 8F3E812E
	s_mul_i32 s62, s62, 8                                      // 000000002E90: 923E883E
	s_and_b32 s63, s46, 1                                      // 000000002E94: 863F812E
	s_mul_i32 s63, s63, 2                                      // 000000002E98: 923F823F
	s_add_u32 s62, s62, s63                                    // 000000002E9C: 803E3F3E
	s_mul_i32 s62, s37, s62                                    // 000000002EA0: 923E3E25
	v_add_u32_e32 v178, s62, v178                              // 000000002EA4: 6965643E
	s_mul_i32 s62, s37, 32                                     // 000000002EA8: 923EA025
	v_add_u32_e32 v179, s62, v178                              // 000000002EAC: 6967643E
	v_add_u32_e32 v180, s62, v179                              // 000000002EB0: 6969663E
	s_mul_i32 s64, 0x420, s46                                  // 000000002EB4: 92402EFF 00000420
	s_add_u32 s64, 0x800, s64                                  // 000000002EBC: 804040FF 00000800
	v_and_b32_e32 v4, 15, v0                                   // 000000002EC4: 2608008F
	v_lshrrev_b32_e32 v5, 3, v4                                // 000000002EC8: 200A0883
	v_mul_i32_i24_e32 v5, 2, v5                                // 000000002ECC: 0C0A0A82
	v_and_b32_e32 v4, 3, v0                                    // 000000002ED0: 26080083
	v_lshrrev_b32_e32 v6, 1, v4                                // 000000002ED4: 200C0881
	v_add_u32_e32 v4, v5, v6                                   // 000000002ED8: 68080D05
	v_mul_i32_i24_e32 v181, 0x420, v4                          // 000000002EDC: 0D6A08FF 00000420
	v_and_b32_e32 v4, 7, v0                                    // 000000002EE4: 26080087
	v_lshrrev_b32_e32 v5, 2, v4                                // 000000002EE8: 200A0882
	v_mul_i32_i24_e32 v5, 0x100, v5                            // 000000002EEC: 0C0A0AFF 00000100
	v_add_u32_e32 v181, v5, v181                               // 000000002EF4: 696B6B05
	v_and_b32_e32 v4, 1, v0                                    // 000000002EF8: 26080081
	v_mul_i32_i24_e32 v6, 0x80, v4                             // 000000002EFC: 0C0C08FF 00000080
	v_add_u32_e32 v181, v6, v181                               // 000000002F04: 696B6B06
	v_lshrrev_b32_e32 v4, 4, v0                                // 000000002F08: 20080084
	v_mul_i32_i24_e32 v4, 16, v4                               // 000000002F0C: 0C080890
	v_add_u32_e32 v181, v4, v181                               // 000000002F10: 696B6B04
	v_add_u32_e32 v181, 0x800, v181                            // 000000002F14: 696B6AFF 00000800
	v_add_u32_e32 v182, 0x3180, v181                           // 000000002F1C: 696D6AFF 00003180
	s_mul_i32 s62, s48, 0x60                                   // 000000002F24: 923EFF30 00000060
	s_mul_hi_u32 s63, s39, s62                                 // 000000002F2C: 963F3E27
	s_add_u32 s21, s21, s63                                    // 000000002F30: 80153F15
	s_mul_i32 s63, s39, s62                                    // 000000002F34: 923F3E27
	s_add_u32 s20, s20, s63                                    // 000000002F38: 80143F14
	s_addc_u32 s21, s21, 0                                     // 000000002F3C: 82158015
	s_add_u32 s63, s43, 31                                     // 000000002F40: 803F9F2B
	s_lshr_b32 s63, s63, 5                                     // 000000002F44: 8F3F853F
	s_lshl_b32 s63, s63, 5                                     // 000000002F48: 8E3F853F
	s_sub_i32 s63, s63, s62                                    // 000000002F4C: 81BF3E3F
	s_cmp_lt_u32 s63, 0x60                                     // 000000002F50: BF0AFF3F 00000060
	s_cselect_b32 s62, s63, 0x60                               // 000000002F58: 853EFF3F 00000060
	s_mul_i32 s22, s39, s62                                    // 000000002F60: 92163E27
	s_mov_b32 s23, 0x20000                                     // 000000002F64: BE9700FF 00020000
	v_lshlrev_b32_e32 v183, 2, v0                              // 000000002F6C: 256E0082
	s_mul_i32 s63, s46, 32                                     // 000000002F70: 923FA02E
	s_mul_i32 s63, s63, s39                                    // 000000002F74: 923F273F
	v_add_u32_e32 v183, s63, v183                              // 000000002F78: 696F6E3F
	s_mul_i32 s65, s46, 0x100                                  // 000000002F7C: 9241FF2E 00000100
	s_add_i32 s65, s65, 0                                      // 000000002F84: 81418041
	v_lshlrev_b32_e32 v184, 2, v0                              // 000000002F88: 25700082
	v_add_u32_e32 v184, 0, v184                                // 000000002F8C: 69717080
	s_lshr_b32 s38, s38, 1                                     // 000000002F90: 8F268126
	s_mul_i32 s62, s47, 0x200                                  // 000000002F94: 923EFF2F 00000200
	s_mul_hi_u32 s63, s38, s62                                 // 000000002F9C: 963F3E26
	s_add_u32 s17, s17, s63                                    // 000000002FA0: 80113F11
	s_mul_i32 s63, s38, s62                                    // 000000002FA4: 923F3E26
	s_add_u32 s16, s16, s63                                    // 000000002FA8: 80103F10
	s_addc_u32 s17, s17, 0                                     // 000000002FAC: 82118011
	s_sub_i32 s63, s44, s62                                    // 000000002FB0: 81BF3E2C
	s_cmp_lt_u32 s63, 0x200                                    // 000000002FB4: BF0AFF3F 00000200
	s_cselect_b32 s62, s63, 0x200                              // 000000002FBC: 853EFF3F 00000200
	s_mul_i32 s18, s38, s62                                    // 000000002FC4: 92123E26
	s_mov_b32 s19, 0x20000                                     // 000000002FC8: BE9300FF 00020000
	v_lshlrev_b32_e32 v185, 4, v0                              // 000000002FD0: 25720084
	s_mul_i32 s63, s46, 0x80                                   // 000000002FD4: 923FFF2E 00000080
	s_mul_i32 s62, s63, s38                                    // 000000002FDC: 923E263F
	v_add_u32_e32 v185, s62, v185                              // 000000002FE0: 6973723E
	s_mul_i32 s62, 16, s38                                     // 000000002FE4: 923E2690
	v_add_u32_e32 v186, s62, v185                              // 000000002FE8: 6975723E
	v_add_u32_e32 v187, s62, v186                              // 000000002FEC: 6977743E
	v_add_u32_e32 v188, s62, v187                              // 000000002FF0: 6979763E
	v_add_u32_e32 v189, s62, v188                              // 000000002FF4: 697B783E
	v_add_u32_e32 v190, s62, v189                              // 000000002FF8: 697D7A3E
	v_add_u32_e32 v191, s62, v190                              // 000000002FFC: 697F7C3E
	v_add_u32_e32 v192, s62, v191                              // 000000003000: 69817E3E
	s_mul_i32 s62, s47, 0x200                                  // 000000003004: 923EFF2F 00000200
	s_mul_hi_u32 s63, s40, s62                                 // 00000000300C: 963F3E28
	s_add_u32 s25, s25, s63                                    // 000000003010: 80193F19
	s_mul_i32 s63, s40, s62                                    // 000000003014: 923F3E28
	s_add_u32 s24, s24, s63                                    // 000000003018: 80183F18
	s_addc_u32 s25, s25, 0                                     // 00000000301C: 82198019
	s_sub_i32 s63, s44, s62                                    // 000000003020: 81BF3E2C
	s_cmp_lt_u32 s63, 0x200                                    // 000000003024: BF0AFF3F 00000200
	s_cselect_b32 s62, s63, 0x200                              // 00000000302C: 853EFF3F 00000200
	s_mul_i32 s26, s40, s62                                    // 000000003034: 921A3E28
	s_mov_b32 s27, 0x20000                                     // 000000003038: BE9B00FF 00020000
	v_lshlrev_b32_e32 v193, 2, v0                              // 000000003040: 25820082
	s_mul_i32 s63, s46, 0x80                                   // 000000003044: 923FFF2E 00000080
	s_mul_i32 s63, s63, s40                                    // 00000000304C: 923F283F
	v_add_u32_e32 v193, s63, v193                              // 000000003050: 6983823F
	s_mul_i32 s62, 32, s40                                     // 000000003054: 923E28A0
	v_add_u32_e32 v194, s62, v193                              // 000000003058: 6985823E
	v_add_u32_e32 v195, s62, v194                              // 00000000305C: 6987843E
	v_add_u32_e32 v196, s62, v195                              // 000000003060: 6989863E
	s_mov_b32 s66, 0x80                                        // 000000003064: BEC200FF 00000080
	s_mov_b32 s67, 0x800                                       // 00000000306C: BEC300FF 00000800
	s_mov_b32 s68, 0x100                                       // 000000003074: BEC400FF 00000100
	s_mov_b32 s69, 0x100                                       // 00000000307C: BEC500FF 00000100
	s_mov_b32 s60, 0                                           // 000000003084: BEBC0080
	s_mov_b32 s61, s45                                         // 000000003088: BEBD002D
	s_add_u32 m0, 0, s65                                       // 00000000308C: 807C4180
	buffer_load_dword v183, s[20:23], 0 offen lds              // 000000003090: E0511000 800500B7
	v_accvgpr_write_b32 a0, 0                                  // 000000003098: D3D94000 18000080
	v_accvgpr_write_b32 a1, 0                                  // 0000000030A0: D3D94001 18000080
	v_accvgpr_write_b32 a2, 0                                  // 0000000030A8: D3D94002 18000080
	v_accvgpr_write_b32 a3, 0                                  // 0000000030B0: D3D94003 18000080
	v_accvgpr_write_b32 a4, 0                                  // 0000000030B8: D3D94004 18000080
	v_accvgpr_write_b32 a5, 0                                  // 0000000030C0: D3D94005 18000080
	s_add_u32 m0, 0, s64                                       // 0000000030C8: 807C4080
	buffer_load_dwordx4 v178, s[12:15], 0 offen lds            // 0000000030CC: E05D1000 800300B2
	v_accvgpr_write_b32 a6, 0                                  // 0000000030D4: D3D94006 18000080
	v_accvgpr_write_b32 a7, 0                                  // 0000000030DC: D3D94007 18000080
	v_accvgpr_write_b32 a8, 0                                  // 0000000030E4: D3D94008 18000080
	v_accvgpr_write_b32 a9, 0                                  // 0000000030EC: D3D94009 18000080
	v_accvgpr_write_b32 a10, 0                                 // 0000000030F4: D3D9400A 18000080
	v_accvgpr_write_b32 a11, 0                                 // 0000000030FC: D3D9400B 18000080
	s_add_u32 m0, 0x1080, s64                                  // 000000003104: 807C40FF 00001080
	buffer_load_dwordx4 v179, s[12:15], 0 offen lds            // 00000000310C: E05D1000 800300B3
	v_accvgpr_write_b32 a12, 0                                 // 000000003114: D3D9400C 18000080
	v_accvgpr_write_b32 a13, 0                                 // 00000000311C: D3D9400D 18000080
	v_accvgpr_write_b32 a14, 0                                 // 000000003124: D3D9400E 18000080
	v_accvgpr_write_b32 a15, 0                                 // 00000000312C: D3D9400F 18000080
	v_accvgpr_write_b32 a16, 0                                 // 000000003134: D3D94010 18000080
	v_accvgpr_write_b32 a17, 0                                 // 00000000313C: D3D94011 18000080
	buffer_load_dwordx4 v[104:107], v185, s[16:19], 0 offen    // 000000003144: E05C1000 800468B9
	v_accvgpr_write_b32 a18, 0                                 // 00000000314C: D3D94012 18000080
	v_accvgpr_write_b32 a19, 0                                 // 000000003154: D3D94013 18000080
	v_accvgpr_write_b32 a20, 0                                 // 00000000315C: D3D94014 18000080
	v_accvgpr_write_b32 a21, 0                                 // 000000003164: D3D94015 18000080
	v_accvgpr_write_b32 a22, 0                                 // 00000000316C: D3D94016 18000080
	v_accvgpr_write_b32 a23, 0                                 // 000000003174: D3D94017 18000080
	buffer_load_dwordx4 v[108:111], v186, s[16:19], 0 offen    // 00000000317C: E05C1000 80046CBA
	v_accvgpr_write_b32 a24, 0                                 // 000000003184: D3D94018 18000080
	v_accvgpr_write_b32 a25, 0                                 // 00000000318C: D3D94019 18000080
	v_accvgpr_write_b32 a26, 0                                 // 000000003194: D3D9401A 18000080
	v_accvgpr_write_b32 a27, 0                                 // 00000000319C: D3D9401B 18000080
	v_accvgpr_write_b32 a28, 0                                 // 0000000031A4: D3D9401C 18000080
	v_accvgpr_write_b32 a29, 0                                 // 0000000031AC: D3D9401D 18000080
	buffer_load_dwordx4 v[112:115], v185, s[16:19], 0 offen offset:1024// 0000000031B4: E05C1400 800470B9
	v_accvgpr_write_b32 a30, 0                                 // 0000000031BC: D3D9401E 18000080
	v_accvgpr_write_b32 a31, 0                                 // 0000000031C4: D3D9401F 18000080
	v_accvgpr_write_b32 a32, 0                                 // 0000000031CC: D3D94020 18000080
	v_accvgpr_write_b32 a33, 0                                 // 0000000031D4: D3D94021 18000080
	v_accvgpr_write_b32 a34, 0                                 // 0000000031DC: D3D94022 18000080
	v_accvgpr_write_b32 a35, 0                                 // 0000000031E4: D3D94023 18000080
	buffer_load_dwordx4 v[116:119], v186, s[16:19], 0 offen offset:1024// 0000000031EC: E05C1400 800474BA
	v_accvgpr_write_b32 a36, 0                                 // 0000000031F4: D3D94024 18000080
	v_accvgpr_write_b32 a37, 0                                 // 0000000031FC: D3D94025 18000080
	v_accvgpr_write_b32 a38, 0                                 // 000000003204: D3D94026 18000080
	v_accvgpr_write_b32 a39, 0                                 // 00000000320C: D3D94027 18000080
	v_accvgpr_write_b32 a40, 0                                 // 000000003214: D3D94028 18000080
	v_accvgpr_write_b32 a41, 0                                 // 00000000321C: D3D94029 18000080
	buffer_load_dword v174, v193, s[24:27], 0 offen            // 000000003224: E0501000 8006AEC1
	v_accvgpr_write_b32 a42, 0                                 // 00000000322C: D3D9402A 18000080
	v_accvgpr_write_b32 a43, 0                                 // 000000003234: D3D9402B 18000080
	v_accvgpr_write_b32 a44, 0                                 // 00000000323C: D3D9402C 18000080
	v_accvgpr_write_b32 a45, 0                                 // 000000003244: D3D9402D 18000080
	v_accvgpr_write_b32 a46, 0                                 // 00000000324C: D3D9402E 18000080
	v_accvgpr_write_b32 a47, 0                                 // 000000003254: D3D9402F 18000080
	s_add_u32 m0, 0x2100, s64                                  // 00000000325C: 807C40FF 00002100
	buffer_load_dwordx4 v180, s[12:15], 0 offen lds            // 000000003264: E05D1000 800300B4
	v_accvgpr_write_b32 a48, 0                                 // 00000000326C: D3D94030 18000080
	v_accvgpr_write_b32 a49, 0                                 // 000000003274: D3D94031 18000080
	v_accvgpr_write_b32 a50, 0                                 // 00000000327C: D3D94032 18000080
	v_accvgpr_write_b32 a51, 0                                 // 000000003284: D3D94033 18000080
	v_accvgpr_write_b32 a52, 0                                 // 00000000328C: D3D94034 18000080
	v_accvgpr_write_b32 a53, 0                                 // 000000003294: D3D94035 18000080
	s_add_u32 s62, 0x100, s60                                  // 00000000329C: 803E3CFF 00000100
	s_cmp_lt_u32 s62, s61                                      // 0000000032A4: BF0A3D3E
	s_cselect_b32 s66, s66, 0                                  // 0000000032A8: 85428042
	s_cselect_b32 s68, s68, 0                                  // 0000000032AC: 85448044
	s_add_u32 s12, s12, s66                                    // 0000000032B0: 800C420C
	s_addc_u32 s13, 0, s13                                     // 0000000032B4: 820D0D80
	s_sub_u32 s14, s14, s66                                    // 0000000032B8: 808E420E
	s_add_u32 s20, s20, s68                                    // 0000000032BC: 80144414
	s_addc_u32 s21, 0, s21                                     // 0000000032C0: 82151580
	s_sub_u32 s22, s22, s68                                    // 0000000032C4: 80964416
	buffer_load_dwordx4 v[120:123], v187, s[16:19], 0 offen    // 0000000032C8: E05C1000 800478BB
	v_accvgpr_write_b32 a54, 0                                 // 0000000032D0: D3D94036 18000080
	v_accvgpr_write_b32 a55, 0                                 // 0000000032D8: D3D94037 18000080
	v_accvgpr_write_b32 a56, 0                                 // 0000000032E0: D3D94038 18000080
	v_accvgpr_write_b32 a57, 0                                 // 0000000032E8: D3D94039 18000080
	v_accvgpr_write_b32 a58, 0                                 // 0000000032F0: D3D9403A 18000080
	v_accvgpr_write_b32 a59, 0                                 // 0000000032F8: D3D9403B 18000080
	buffer_load_dwordx4 v[124:127], v188, s[16:19], 0 offen    // 000000003300: E05C1000 80047CBC
	v_accvgpr_write_b32 a60, 0                                 // 000000003308: D3D9403C 18000080
	v_accvgpr_write_b32 a61, 0                                 // 000000003310: D3D9403D 18000080
	v_accvgpr_write_b32 a62, 0                                 // 000000003318: D3D9403E 18000080
	v_accvgpr_write_b32 a63, 0                                 // 000000003320: D3D9403F 18000080
	v_accvgpr_write_b32 a64, 0                                 // 000000003328: D3D94040 18000080
	v_accvgpr_write_b32 a65, 0                                 // 000000003330: D3D94041 18000080
	buffer_load_dwordx4 v[128:131], v187, s[16:19], 0 offen offset:1024// 000000003338: E05C1400 800480BB
	v_accvgpr_write_b32 a66, 0                                 // 000000003340: D3D94042 18000080
	v_accvgpr_write_b32 a67, 0                                 // 000000003348: D3D94043 18000080
	v_accvgpr_write_b32 a68, 0                                 // 000000003350: D3D94044 18000080
	v_accvgpr_write_b32 a69, 0                                 // 000000003358: D3D94045 18000080
	v_accvgpr_write_b32 a70, 0                                 // 000000003360: D3D94046 18000080
	v_accvgpr_write_b32 a71, 0                                 // 000000003368: D3D94047 18000080
	buffer_load_dwordx4 v[132:135], v188, s[16:19], 0 offen offset:1024// 000000003370: E05C1400 800484BC
	v_accvgpr_write_b32 a72, 0                                 // 000000003378: D3D94048 18000080
	v_accvgpr_write_b32 a73, 0                                 // 000000003380: D3D94049 18000080
	v_accvgpr_write_b32 a74, 0                                 // 000000003388: D3D9404A 18000080
	v_accvgpr_write_b32 a75, 0                                 // 000000003390: D3D9404B 18000080
	v_accvgpr_write_b32 a76, 0                                 // 000000003398: D3D9404C 18000080
	v_accvgpr_write_b32 a77, 0                                 // 0000000033A0: D3D9404D 18000080
	buffer_load_dword v175, v194, s[24:27], 0 offen            // 0000000033A8: E0501000 8006AFC2
	v_accvgpr_write_b32 a78, 0                                 // 0000000033B0: D3D9404E 18000080
	v_accvgpr_write_b32 a79, 0                                 // 0000000033B8: D3D9404F 18000080
	v_accvgpr_write_b32 a80, 0                                 // 0000000033C0: D3D94050 18000080
	v_accvgpr_write_b32 a81, 0                                 // 0000000033C8: D3D94051 18000080
	v_accvgpr_write_b32 a82, 0                                 // 0000000033D0: D3D94052 18000080
	v_accvgpr_write_b32 a83, 0                                 // 0000000033D8: D3D94053 18000080
	buffer_load_dwordx4 v[136:139], v189, s[16:19], 0 offen    // 0000000033E0: E05C1000 800488BD
	v_accvgpr_write_b32 a84, 0                                 // 0000000033E8: D3D94054 18000080
	v_accvgpr_write_b32 a85, 0                                 // 0000000033F0: D3D94055 18000080
	v_accvgpr_write_b32 a86, 0                                 // 0000000033F8: D3D94056 18000080
	v_accvgpr_write_b32 a87, 0                                 // 000000003400: D3D94057 18000080
	v_accvgpr_write_b32 a88, 0                                 // 000000003408: D3D94058 18000080
	v_accvgpr_write_b32 a89, 0                                 // 000000003410: D3D94059 18000080
	buffer_load_dwordx4 v[140:143], v190, s[16:19], 0 offen    // 000000003418: E05C1000 80048CBE
	v_accvgpr_write_b32 a90, 0                                 // 000000003420: D3D9405A 18000080
	v_accvgpr_write_b32 a91, 0                                 // 000000003428: D3D9405B 18000080
	v_accvgpr_write_b32 a92, 0                                 // 000000003430: D3D9405C 18000080
	v_accvgpr_write_b32 a93, 0                                 // 000000003438: D3D9405D 18000080
	v_accvgpr_write_b32 a94, 0                                 // 000000003440: D3D9405E 18000080
	v_accvgpr_write_b32 a95, 0                                 // 000000003448: D3D9405F 18000080
	buffer_load_dwordx4 v[144:147], v189, s[16:19], 0 offen offset:1024// 000000003450: E05C1400 800490BD
	v_accvgpr_write_b32 a96, 0                                 // 000000003458: D3D94060 18000080
	v_accvgpr_write_b32 a97, 0                                 // 000000003460: D3D94061 18000080
	v_accvgpr_write_b32 a98, 0                                 // 000000003468: D3D94062 18000080
	v_accvgpr_write_b32 a99, 0                                 // 000000003470: D3D94063 18000080
	v_accvgpr_write_b32 a100, 0                                // 000000003478: D3D94064 18000080
	v_accvgpr_write_b32 a101, 0                                // 000000003480: D3D94065 18000080
	buffer_load_dwordx4 v[148:151], v190, s[16:19], 0 offen offset:1024// 000000003488: E05C1400 800494BE
	v_accvgpr_write_b32 a102, 0                                // 000000003490: D3D94066 18000080
	v_accvgpr_write_b32 a103, 0                                // 000000003498: D3D94067 18000080
	v_accvgpr_write_b32 a104, 0                                // 0000000034A0: D3D94068 18000080
	v_accvgpr_write_b32 a105, 0                                // 0000000034A8: D3D94069 18000080
	v_accvgpr_write_b32 a106, 0                                // 0000000034B0: D3D9406A 18000080
	v_accvgpr_write_b32 a107, 0                                // 0000000034B8: D3D9406B 18000080
	buffer_load_dword v176, v195, s[24:27], 0 offen            // 0000000034C0: E0501000 8006B0C3
	v_accvgpr_write_b32 a108, 0                                // 0000000034C8: D3D9406C 18000080
	v_accvgpr_write_b32 a109, 0                                // 0000000034D0: D3D9406D 18000080
	v_accvgpr_write_b32 a110, 0                                // 0000000034D8: D3D9406E 18000080
	v_accvgpr_write_b32 a111, 0                                // 0000000034E0: D3D9406F 18000080
	v_accvgpr_write_b32 a112, 0                                // 0000000034E8: D3D94070 18000080
	v_accvgpr_write_b32 a113, 0                                // 0000000034F0: D3D94071 18000080
	v_accvgpr_write_b32 a114, 0                                // 0000000034F8: D3D94072 18000080
	v_accvgpr_write_b32 a115, 0                                // 000000003500: D3D94073 18000080
	v_accvgpr_write_b32 a116, 0                                // 000000003508: D3D94074 18000080
	v_accvgpr_write_b32 a117, 0                                // 000000003510: D3D94075 18000080
	v_accvgpr_write_b32 a118, 0                                // 000000003518: D3D94076 18000080
	v_accvgpr_write_b32 a119, 0                                // 000000003520: D3D94077 18000080
	v_accvgpr_write_b32 a120, 0                                // 000000003528: D3D94078 18000080
	v_accvgpr_write_b32 a121, 0                                // 000000003530: D3D94079 18000080
	v_accvgpr_write_b32 a122, 0                                // 000000003538: D3D9407A 18000080
	v_accvgpr_write_b32 a123, 0                                // 000000003540: D3D9407B 18000080
	v_accvgpr_write_b32 a124, 0                                // 000000003548: D3D9407C 18000080
	v_accvgpr_write_b32 a125, 0                                // 000000003550: D3D9407D 18000080
	v_accvgpr_write_b32 a126, 0                                // 000000003558: D3D9407E 18000080
	v_accvgpr_write_b32 a127, 0                                // 000000003560: D3D9407F 18000080
	v_accvgpr_write_b32 a128, 0                                // 000000003568: D3D94080 18000080
	v_accvgpr_write_b32 a129, 0                                // 000000003570: D3D94081 18000080
	v_accvgpr_write_b32 a130, 0                                // 000000003578: D3D94082 18000080
	v_accvgpr_write_b32 a131, 0                                // 000000003580: D3D94083 18000080
	v_accvgpr_write_b32 a132, 0                                // 000000003588: D3D94084 18000080
	v_accvgpr_write_b32 a133, 0                                // 000000003590: D3D94085 18000080
	v_accvgpr_write_b32 a134, 0                                // 000000003598: D3D94086 18000080
	v_accvgpr_write_b32 a135, 0                                // 0000000035A0: D3D94087 18000080
	v_accvgpr_write_b32 a136, 0                                // 0000000035A8: D3D94088 18000080
	v_accvgpr_write_b32 a137, 0                                // 0000000035B0: D3D94089 18000080
	v_accvgpr_write_b32 a138, 0                                // 0000000035B8: D3D9408A 18000080
	v_accvgpr_write_b32 a139, 0                                // 0000000035C0: D3D9408B 18000080
	v_accvgpr_write_b32 a140, 0                                // 0000000035C8: D3D9408C 18000080
	v_accvgpr_write_b32 a141, 0                                // 0000000035D0: D3D9408D 18000080
	v_accvgpr_write_b32 a142, 0                                // 0000000035D8: D3D9408E 18000080
	v_accvgpr_write_b32 a143, 0                                // 0000000035E0: D3D9408F 18000080
	v_accvgpr_write_b32 a144, 0                                // 0000000035E8: D3D94090 18000080
	v_accvgpr_write_b32 a145, 0                                // 0000000035F0: D3D94091 18000080
	v_accvgpr_write_b32 a146, 0                                // 0000000035F8: D3D94092 18000080
	v_accvgpr_write_b32 a147, 0                                // 000000003600: D3D94093 18000080
	v_accvgpr_write_b32 a148, 0                                // 000000003608: D3D94094 18000080
	v_accvgpr_write_b32 a149, 0                                // 000000003610: D3D94095 18000080
	v_accvgpr_write_b32 a150, 0                                // 000000003618: D3D94096 18000080
	v_accvgpr_write_b32 a151, 0                                // 000000003620: D3D94097 18000080
	v_accvgpr_write_b32 a152, 0                                // 000000003628: D3D94098 18000080
	v_accvgpr_write_b32 a153, 0                                // 000000003630: D3D94099 18000080
	v_accvgpr_write_b32 a154, 0                                // 000000003638: D3D9409A 18000080
	v_accvgpr_write_b32 a155, 0                                // 000000003640: D3D9409B 18000080
	v_accvgpr_write_b32 a156, 0                                // 000000003648: D3D9409C 18000080
	v_accvgpr_write_b32 a157, 0                                // 000000003650: D3D9409D 18000080
	v_accvgpr_write_b32 a158, 0                                // 000000003658: D3D9409E 18000080
	v_accvgpr_write_b32 a159, 0                                // 000000003660: D3D9409F 18000080
	v_accvgpr_write_b32 a160, 0                                // 000000003668: D3D940A0 18000080
	v_accvgpr_write_b32 a161, 0                                // 000000003670: D3D940A1 18000080
	v_accvgpr_write_b32 a162, 0                                // 000000003678: D3D940A2 18000080
	v_accvgpr_write_b32 a163, 0                                // 000000003680: D3D940A3 18000080
	v_accvgpr_write_b32 a164, 0                                // 000000003688: D3D940A4 18000080
	v_accvgpr_write_b32 a165, 0                                // 000000003690: D3D940A5 18000080
	v_accvgpr_write_b32 a166, 0                                // 000000003698: D3D940A6 18000080
	v_accvgpr_write_b32 a167, 0                                // 0000000036A0: D3D940A7 18000080
	v_accvgpr_write_b32 a168, 0                                // 0000000036A8: D3D940A8 18000080
	v_accvgpr_write_b32 a169, 0                                // 0000000036B0: D3D940A9 18000080
	v_accvgpr_write_b32 a170, 0                                // 0000000036B8: D3D940AA 18000080
	v_accvgpr_write_b32 a171, 0                                // 0000000036C0: D3D940AB 18000080
	v_accvgpr_write_b32 a172, 0                                // 0000000036C8: D3D940AC 18000080
	v_accvgpr_write_b32 a173, 0                                // 0000000036D0: D3D940AD 18000080
	v_accvgpr_write_b32 a174, 0                                // 0000000036D8: D3D940AE 18000080
	v_accvgpr_write_b32 a175, 0                                // 0000000036E0: D3D940AF 18000080
	v_accvgpr_write_b32 a176, 0                                // 0000000036E8: D3D940B0 18000080
	v_accvgpr_write_b32 a177, 0                                // 0000000036F0: D3D940B1 18000080
	v_accvgpr_write_b32 a178, 0                                // 0000000036F8: D3D940B2 18000080
	v_accvgpr_write_b32 a179, 0                                // 000000003700: D3D940B3 18000080
	v_accvgpr_write_b32 a180, 0                                // 000000003708: D3D940B4 18000080
	v_accvgpr_write_b32 a181, 0                                // 000000003710: D3D940B5 18000080
	v_accvgpr_write_b32 a182, 0                                // 000000003718: D3D940B6 18000080
	v_accvgpr_write_b32 a183, 0                                // 000000003720: D3D940B7 18000080
	v_accvgpr_write_b32 a184, 0                                // 000000003728: D3D940B8 18000080
	v_accvgpr_write_b32 a185, 0                                // 000000003730: D3D940B9 18000080
	v_accvgpr_write_b32 a186, 0                                // 000000003738: D3D940BA 18000080
	v_accvgpr_write_b32 a187, 0                                // 000000003740: D3D940BB 18000080
	v_accvgpr_write_b32 a188, 0                                // 000000003748: D3D940BC 18000080
	v_accvgpr_write_b32 a189, 0                                // 000000003750: D3D940BD 18000080
	v_accvgpr_write_b32 a190, 0                                // 000000003758: D3D940BE 18000080
	v_accvgpr_write_b32 a191, 0                                // 000000003760: D3D940BF 18000080
	s_waitcnt vmcnt(16)                                        // 000000003768: BF8C4F70
	s_barrier                                                  // 00000000376C: BF8A0000
	ds_read_b128 v[8:11], v181                                 // 000000003770: D9FE0000 080000B5
	ds_read_b128 v[16:19], v181 offset:64                      // 000000003778: D9FE0040 100000B5
	ds_read_b128 v[12:15], v181 offset:512                     // 000000003780: D9FE0200 0C0000B5
	ds_read_b128 v[20:23], v181 offset:576                     // 000000003788: D9FE0240 140000B5
	ds_read_b32 v168, v184                                     // 000000003790: D86C0000 A80000B8
	ds_read_b128 v[24:27], v181 offset:4224                    // 000000003798: D9FE1080 180000B5
	ds_read_b128 v[32:35], v181 offset:4288                    // 0000000037A0: D9FE10C0 200000B5
	ds_read_b128 v[28:31], v181 offset:4736                    // 0000000037A8: D9FE1280 1C0000B5
	ds_read_b128 v[36:39], v181 offset:4800                    // 0000000037B0: D9FE12C0 240000B5
	ds_read_b32 v169, v184 offset:256                          // 0000000037B8: D86C0100 A90000B8
	s_nop 0                                                    // 0000000037C0: BF800000
	s_nop 0                                                    // 0000000037C4: BF800000
	s_nop 0                                                    // 0000000037C8: BF800000
	s_nop 0                                                    // 0000000037CC: BF800000
	s_nop 0                                                    // 0000000037D0: BF800000
	s_lshl_b32 s36, s36, 1                                     // 0000000037D4: 8E248124
	s_mul_i32 s62, s48, 0x60                                   // 0000000037D8: 923EFF30 00000060
	s_mul_hi_u32 s63, s36, s62                                 // 0000000037E0: 963F3E24
	s_add_u32 s5, s5, s63                                      // 0000000037E4: 80053F05
	s_mul_i32 s63, s36, s62                                    // 0000000037E8: 923F3E24
	s_add_u32 s4, s4, s63                                      // 0000000037EC: 80043F04
	s_addc_u32 s5, s5, 0                                       // 0000000037F0: 82058005
	s_mul_i32 s63, s47, 0x200                                  // 0000000037F4: 923FFF2F 00000200
	s_lshl_b32 s63, s63, 1                                     // 0000000037FC: 8E3F813F
	s_add_u32 s4, s4, s63                                      // 000000003800: 80043F04
	s_addc_u32 s5, s5, 0                                       // 000000003804: 82058005
	s_sub_i32 s62, s43, s62                                    // 000000003808: 81BE3E2B
	s_cmp_lt_u32 s62, 0x60                                     // 00000000380C: BF0AFF3E 00000060
	s_cselect_b32 s62, s62, 0x60                               // 000000003814: 853EFF3E 00000060
	s_mul_i32 s62, s36, s62                                    // 00000000381C: 923E3E24
	s_sub_i32 s6, s62, s63                                     // 000000003820: 81863F3E
	s_mov_b32 s7, 0x20000                                      // 000000003824: BE8700FF 00020000
	s_mul_i32 s62, s46, 0x80                                   // 00000000382C: 923EFF2E 00000080
	s_lshl_b32 s62, s62, 1                                     // 000000003834: 8E3E813E
	v_lshrrev_b32_e32 v4, 5, v0                                // 000000003838: 20080085
	v_mul_i32_i24_e32 v4, 16, v4                               // 00000000383C: 0C080890
	v_lshrrev_b32_e32 v5, 4, v0                                // 000000003840: 200A0084
	v_and_b32_e32 v5, 1, v5                                    // 000000003844: 260A0A81
	v_mul_i32_i24_e32 v5, 32, v5                               // 000000003848: 0C0A0AA0
	v_add_u32_e32 v4, v4, v5                                   // 00000000384C: 68080B04
	v_and_b32_e32 v5, 15, v0                                   // 000000003850: 260A008F
	v_mul_lo_u32 v197, s36, v5                                 // 000000003854: D28500C5 00020A24
	v_add_u32_e32 v197, s62, v197                              // 00000000385C: 698B8A3E
	v_add_u32_e32 v197, v4, v197                               // 000000003860: 698B8B04
	s_cmp_lt_i32 s46, 2                                        // 000000003864: BF04822E
	s_cbranch_scc0 label_070A                                  // 000000003868: BF8403EF

000000000000386c <label_031B>:
	s_waitcnt vmcnt(10) lgkmcnt(5)                             // 00000000386C: BF8C057A
	s_barrier                                                  // 000000003870: BF8A0000
	v_mfma_scale_f32_16x16x128_f8f6f4 a[0:3], v[104:107], v[8:11], a[0:3], v174, v168 op_sel_hi:[0,0,0] cbsz:4 blgp:4// 000000003874: D3AC6000 000351AE D3AD8C00 84021168
	s_add_u32 s63, 0x100, s60                                  // 000000003884: 803F3CFF 00000100
	ds_read_b128 v[40:43], v181 offset:8448                    // 00000000388C: D9FE2100 280000B5
	v_mfma_scale_f32_16x16x128_f8f6f4 a[4:7], v[104:107], v[12:15], a[4:7], v174, v168 op_sel_hi:[0,0,0] cbsz:4 blgp:4// 000000003894: D3AC7000 000351AE D3AD8C04 84121968
	s_cmp_lt_u32 s63, s61                                      // 0000000038A4: BF0A3D3F
	buffer_load_dwordx4 v[152:155], v191, s[16:19], 0 offen    // 0000000038A8: E05C1000 800498BF
	v_mfma_scale_f32_16x16x128_f8f6f4 a[8:11], v[108:111], v[8:11], a[8:11], v174, v168 op_sel_hi:[0,0,0] cbsz:4 blgp:4// 0000000038B0: D3AC6800 000351AE D3AD8C08 8422116C
	s_cselect_b32 s67, s67, 0                                  // 0000000038C0: 85438043
	ds_read_b128 v[48:51], v181 offset:8512                    // 0000000038C4: D9FE2140 300000B5
	v_mfma_scale_f32_16x16x128_f8f6f4 a[12:15], v[108:111], v[12:15], a[12:15], v174, v168 op_sel_hi:[0,0,0] cbsz:4 blgp:4// 0000000038CC: D3AC7800 000351AE D3AD8C0C 8432196C
	s_cselect_b32 s69, s69, 0                                  // 0000000038DC: 85458045
	v_mfma_scale_f32_16x16x128_f8f6f4 a[0:3], v[112:115], v[16:19], a[0:3], v174, v168 op_sel_hi:[0,0,0] cbsz:4 blgp:4// 0000000038E0: D3AC6000 180351AE D3AD8C00 84022170
	ds_read_b128 v[44:47], v181 offset:8960                    // 0000000038F0: D9FE2300 2C0000B5
	v_mfma_scale_f32_16x16x128_f8f6f4 a[4:7], v[112:115], v[20:23], a[4:7], v174, v168 op_sel_hi:[0,0,0] cbsz:4 blgp:4// 0000000038F8: D3AC7000 180351AE D3AD8C04 84122970
	buffer_load_dwordx4 v[156:159], v192, s[16:19], 0 offen    // 000000003908: E05C1000 80049CC0
	v_mfma_scale_f32_16x16x128_f8f6f4 a[8:11], v[116:119], v[16:19], a[8:11], v174, v168 op_sel_hi:[0,0,0] cbsz:4 blgp:4// 000000003910: D3AC6800 180351AE D3AD8C08 84222174
	ds_read_b128 v[52:55], v181 offset:9024                    // 000000003920: D9FE2340 340000B5
	v_mfma_scale_f32_16x16x128_f8f6f4 a[12:15], v[116:119], v[20:23], a[12:15], v174, v168 op_sel_hi:[0,0,0] cbsz:4 blgp:4// 000000003928: D3AC7800 180351AE D3AD8C0C 84322974
	ds_read_b32 v170, v184 offset:512                          // 000000003938: D86C0200 AA0000B8
	s_waitcnt lgkmcnt(5)                                       // 000000003940: BF8CC57F
	v_mfma_scale_f32_16x16x128_f8f6f4 a[64:67], v[104:107], v[24:27], a[64:67], v174, v169 op_sel_hi:[0,0,0] cbsz:4 blgp:4// 000000003944: D3AC6000 000353AE D3AD8C40 85023168
	v_mfma_scale_f32_16x16x128_f8f6f4 a[68:71], v[104:107], v[28:31], a[68:71], v174, v169 op_sel_hi:[0,0,0] cbsz:4 blgp:4// 000000003954: D3AC7000 000353AE D3AD8C44 85123968
	buffer_load_dwordx4 v[160:163], v191, s[16:19], 0 offen offset:1024// 000000003964: E05C1400 8004A0BF
	v_mfma_scale_f32_16x16x128_f8f6f4 a[72:75], v[108:111], v[24:27], a[72:75], v174, v169 op_sel_hi:[0,0,0] cbsz:4 blgp:4// 00000000396C: D3AC6800 000353AE D3AD8C48 8522316C
	v_mfma_scale_f32_16x16x128_f8f6f4 a[76:79], v[108:111], v[28:31], a[76:79], v174, v169 op_sel_hi:[0,0,0] cbsz:4 blgp:4// 00000000397C: D3AC7800 000353AE D3AD8C4C 8532396C
	v_mfma_scale_f32_16x16x128_f8f6f4 a[64:67], v[112:115], v[32:35], a[64:67], v174, v169 op_sel_hi:[0,0,0] cbsz:4 blgp:4// 00000000398C: D3AC6000 180353AE D3AD8C40 85024170
	v_mfma_scale_f32_16x16x128_f8f6f4 a[68:71], v[112:115], v[36:39], a[68:71], v174, v169 op_sel_hi:[0,0,0] cbsz:4 blgp:4// 00000000399C: D3AC7000 180353AE D3AD8C44 85124970
	buffer_load_dwordx4 v[164:167], v192, s[16:19], 0 offen offset:1024// 0000000039AC: E05C1400 8004A4C0
	v_mfma_scale_f32_16x16x128_f8f6f4 a[72:75], v[116:119], v[32:35], a[72:75], v174, v169 op_sel_hi:[0,0,0] cbsz:4 blgp:4// 0000000039B4: D3AC6800 180353AE D3AD8C48 85224174
	v_mfma_scale_f32_16x16x128_f8f6f4 a[76:79], v[116:119], v[36:39], a[76:79], v174, v169 op_sel_hi:[0,0,0] cbsz:4 blgp:4// 0000000039C4: D3AC7800 180353AE D3AD8C4C 85324974
	s_waitcnt lgkmcnt(0)                                       // 0000000039D4: BF8CC07F
	v_mfma_scale_f32_16x16x128_f8f6f4 a[128:131], v[104:107], v[40:43], a[128:131], v174, v170 op_sel_hi:[0,0,0] cbsz:4 blgp:4// 0000000039D8: D3AC6000 000355AE D3AD8C80 86025168
	v_mfma_scale_f32_16x16x128_f8f6f4 a[132:135], v[104:107], v[44:47], a[132:135], v174, v170 op_sel_hi:[0,0,0] cbsz:4 blgp:4// 0000000039E8: D3AC7000 000355AE D3AD8C84 86125968
	buffer_load_dword v177, v196, s[24:27], 0 offen            // 0000000039F8: E0501000 8006B1C4
	v_mfma_scale_f32_16x16x128_f8f6f4 a[136:139], v[108:111], v[40:43], a[136:139], v174, v170 op_sel_hi:[0,0,0] cbsz:4 blgp:4// 000000003A00: D3AC6800 000355AE D3AD8C88 8622516C
	s_add_u32 s16, s16, s67                                    // 000000003A10: 80104310
	s_addc_u32 s17, 0, s17                                     // 000000003A14: 82111180
	v_mfma_scale_f32_16x16x128_f8f6f4 a[140:143], v[108:111], v[44:47], a[140:143], v174, v170 op_sel_hi:[0,0,0] cbsz:4 blgp:4// 000000003A18: D3AC7800 000355AE D3AD8C8C 8632596C
	s_sub_u32 s18, s18, s67                                    // 000000003A28: 80924312
	s_add_u32 s24, s24, s69                                    // 000000003A2C: 80184518
	v_mfma_scale_f32_16x16x128_f8f6f4 a[128:131], v[112:115], v[48:51], a[128:131], v174, v170 op_sel_hi:[0,0,0] cbsz:4 blgp:4// 000000003A30: D3AC6000 180355AE D3AD8C80 86026170
	s_addc_u32 s25, 0, s25                                     // 000000003A40: 82191980
	s_sub_u32 s26, s26, s69                                    // 000000003A44: 809A451A
	v_mfma_scale_f32_16x16x128_f8f6f4 a[132:135], v[112:115], v[52:55], a[132:135], v174, v170 op_sel_hi:[0,0,0] cbsz:4 blgp:4// 000000003A48: D3AC7000 180355AE D3AD8C84 86126970
	s_add_u32 m0, 0x400, s65                                   // 000000003A58: 807C41FF 00000400
	buffer_load_dword v183, s[20:23], 0 offen lds              // 000000003A60: E0511000 800500B7
	v_mfma_scale_f32_16x16x128_f8f6f4 a[136:139], v[116:119], v[48:51], a[136:139], v174, v170 op_sel_hi:[0,0,0] cbsz:4 blgp:4// 000000003A68: D3AC4800 180355AE D3AD8C88 86226174
	v_mfma_scale_f32_16x16x128_f8f6f4 a[140:143], v[116:119], v[52:55], a[140:143], v174, v170 op_sel_hi:[0,0,0] cbsz:4 blgp:4// 000000003A78: D3AC7800 180355AE D3AD8C8C 86326974
	s_waitcnt vmcnt(11)                                        // 000000003A88: BF8C0F7B
	v_mfma_scale_f32_16x16x128_f8f6f4 a[16:19], v[120:123], v[8:11], a[16:19], v175, v168 op_sel_hi:[0,0,0] cbsz:4 blgp:4// 000000003A8C: D3AC6000 000351AF D3AD8C10 84421178
	v_mfma_scale_f32_16x16x128_f8f6f4 a[20:23], v[120:123], v[12:15], a[20:23], v175, v168 op_sel_hi:[0,0,0] cbsz:4 blgp:4// 000000003A9C: D3AC7000 000351AF D3AD8C14 84521978
	s_add_u32 m0, 0x3180, s64                                  // 000000003AAC: 807C40FF 00003180
	buffer_load_dwordx4 v178, s[12:15], 0 offen lds            // 000000003AB4: E05D1000 800300B2
	v_mfma_scale_f32_16x16x128_f8f6f4 a[24:27], v[124:127], v[8:11], a[24:27], v175, v168 op_sel_hi:[0,0,0] cbsz:4 blgp:4// 000000003ABC: D3AC6800 000351AF D3AD8C18 8462117C
	v_mfma_scale_f32_16x16x128_f8f6f4 a[28:31], v[124:127], v[12:15], a[28:31], v175, v168 op_sel_hi:[0,0,0] cbsz:4 blgp:4// 000000003ACC: D3AC7800 000351AF D3AD8C1C 8472197C
	s_add_u32 m0, 0x4200, s64                                  // 000000003ADC: 807C40FF 00004200
	buffer_load_dwordx4 v179, s[12:15], 0 offen lds            // 000000003AE4: E05D1000 800300B3
	v_mfma_scale_f32_16x16x128_f8f6f4 a[16:19], v[128:131], v[16:19], a[16:19], v175, v168 op_sel_hi:[0,0,0] cbsz:4 blgp:4// 000000003AEC: D3AC6000 180351AF D3AD8C10 84422180
	v_mfma_scale_f32_16x16x128_f8f6f4 a[20:23], v[128:131], v[20:23], a[20:23], v175, v168 op_sel_hi:[0,0,0] cbsz:4 blgp:4// 000000003AFC: D3AC7000 180351AF D3AD8C14 84522980
	buffer_load_dwordx4 v[104:107], v185, s[16:19], 0 offen    // 000000003B0C: E05C1000 800468B9
	v_mfma_scale_f32_16x16x128_f8f6f4 a[24:27], v[132:135], v[16:19], a[24:27], v175, v168 op_sel_hi:[0,0,0] cbsz:4 blgp:4// 000000003B14: D3AC6800 180351AF D3AD8C18 84622184
	v_mfma_scale_f32_16x16x128_f8f6f4 a[28:31], v[132:135], v[20:23], a[28:31], v175, v168 op_sel_hi:[0,0,0] cbsz:4 blgp:4// 000000003B24: D3AC7800 180351AF D3AD8C1C 84722984
	v_mfma_scale_f32_16x16x128_f8f6f4 a[80:83], v[120:123], v[24:27], a[80:83], v175, v169 op_sel_hi:[0,0,0] cbsz:4 blgp:4// 000000003B34: D3AC6000 000353AF D3AD8C50 85423178
	v_mfma_scale_f32_16x16x128_f8f6f4 a[84:87], v[120:123], v[28:31], a[84:87], v175, v169 op_sel_hi:[0,0,0] cbsz:4 blgp:4// 000000003B44: D3AC7000 000353AF D3AD8C54 85523978
	buffer_load_dwordx4 v[108:111], v186, s[16:19], 0 offen    // 000000003B54: E05C1000 80046CBA
	v_mfma_scale_f32_16x16x128_f8f6f4 a[88:91], v[124:127], v[24:27], a[88:91], v175, v169 op_sel_hi:[0,0,0] cbsz:4 blgp:4// 000000003B5C: D3AC6800 000353AF D3AD8C58 8562317C
	v_mfma_scale_f32_16x16x128_f8f6f4 a[92:95], v[124:127], v[28:31], a[92:95], v175, v169 op_sel_hi:[0,0,0] cbsz:4 blgp:4// 000000003B6C: D3AC5800 000353AF D3AD8C5C 8572397C
	v_mfma_scale_f32_16x16x128_f8f6f4 a[80:83], v[128:131], v[32:35], a[80:83], v175, v169 op_sel_hi:[0,0,0] cbsz:4 blgp:4// 000000003B7C: D3AC6000 180353AF D3AD8C50 85424180
	v_mfma_scale_f32_16x16x128_f8f6f4 a[84:87], v[128:131], v[36:39], a[84:87], v175, v169 op_sel_hi:[0,0,0] cbsz:4 blgp:4// 000000003B8C: D3AC7000 180353AF D3AD8C54 85524980
	buffer_load_dwordx4 v[112:115], v185, s[16:19], 0 offen offset:1024// 000000003B9C: E05C1400 800470B9
	v_mfma_scale_f32_16x16x128_f8f6f4 a[88:91], v[132:135], v[32:35], a[88:91], v175, v169 op_sel_hi:[0,0,0] cbsz:4 blgp:4// 000000003BA4: D3AC6800 180353AF D3AD8C58 85624184
	v_mfma_scale_f32_16x16x128_f8f6f4 a[92:95], v[132:135], v[36:39], a[92:95], v175, v169 op_sel_hi:[0,0,0] cbsz:4 blgp:4// 000000003BB4: D3AC7800 180353AF D3AD8C5C 85724984
	v_mfma_scale_f32_16x16x128_f8f6f4 a[144:147], v[120:123], v[40:43], a[144:147], v175, v170 op_sel_hi:[0,0,0] cbsz:4 blgp:4// 000000003BC4: D3AC6000 000355AF D3AD8C90 86425178
	v_mfma_scale_f32_16x16x128_f8f6f4 a[148:151], v[120:123], v[44:47], a[148:151], v175, v170 op_sel_hi:[0,0,0] cbsz:4 blgp:4// 000000003BD4: D3AC7000 000355AF D3AD8C94 86525978
	buffer_load_dwordx4 v[116:119], v186, s[16:19], 0 offen offset:1024// 000000003BE4: E05C1400 800474BA
	v_mfma_scale_f32_16x16x128_f8f6f4 a[152:155], v[124:127], v[40:43], a[152:155], v175, v170 op_sel_hi:[0,0,0] cbsz:4 blgp:4// 000000003BEC: D3AC6800 000355AF D3AD8C98 8662517C
	v_mfma_scale_f32_16x16x128_f8f6f4 a[156:159], v[124:127], v[44:47], a[156:159], v175, v170 op_sel_hi:[0,0,0] cbsz:4 blgp:4// 000000003BFC: D3AC7800 000355AF D3AD8C9C 8672597C
	v_mfma_scale_f32_16x16x128_f8f6f4 a[144:147], v[128:131], v[48:51], a[144:147], v175, v170 op_sel_hi:[0,0,0] cbsz:4 blgp:4// 000000003C0C: D3AC6000 180355AF D3AD8C90 86426180
	v_mfma_scale_f32_16x16x128_f8f6f4 a[148:151], v[128:131], v[52:55], a[148:151], v175, v170 op_sel_hi:[0,0,0] cbsz:4 blgp:4// 000000003C1C: D3AC7000 180355AF D3AD8C94 86526980
	buffer_load_dword v174, v193, s[24:27], 0 offen            // 000000003C2C: E0501000 8006AEC1
	v_mfma_scale_f32_16x16x128_f8f6f4 a[152:155], v[132:135], v[48:51], a[152:155], v175, v170 op_sel_hi:[0,0,0] cbsz:4 blgp:4// 000000003C34: D3AC6800 180355AF D3AD8C98 86626184
	v_mfma_scale_f32_16x16x128_f8f6f4 a[156:159], v[132:135], v[52:55], a[156:159], v175, v170 op_sel_hi:[0,0,0] cbsz:4 blgp:4// 000000003C44: D3AC7800 180355AF D3AD8C9C 86726984
	s_waitcnt vmcnt(13)                                        // 000000003C54: BF8C0F7D
	v_mfma_scale_f32_16x16x128_f8f6f4 a[32:35], v[136:139], v[8:11], a[32:35], v176, v168 op_sel_hi:[0,0,0] cbsz:4 blgp:4// 000000003C58: D3AC6000 000351B0 D3AD8C20 84821188
	v_mfma_scale_f32_16x16x128_f8f6f4 a[36:39], v[136:139], v[12:15], a[36:39], v176, v168 op_sel_hi:[0,0,0] cbsz:4 blgp:4// 000000003C68: D3AC7000 000351B0 D3AD8C24 84921988
	s_add_u32 m0, 0x5280, s64                                  // 000000003C78: 807C40FF 00005280
	buffer_load_dwordx4 v180, s[12:15], 0 offen lds            // 000000003C80: E05D1000 800300B4
	v_mfma_scale_f32_16x16x128_f8f6f4 a[40:43], v[140:143], v[8:11], a[40:43], v176, v168 op_sel_hi:[0,0,0] cbsz:4 blgp:4// 000000003C88: D3AC6800 000351B0 D3AD8C28 84A2118C
	s_add_u32 s62, 0x200, s60                                  // 000000003C98: 803E3CFF 00000200
	s_cmp_lt_u32 s62, s61                                      // 000000003CA0: BF0A3D3E
	v_mfma_scale_f32_16x16x128_f8f6f4 a[44:47], v[140:143], v[12:15], a[44:47], v176, v168 op_sel_hi:[0,0,0] cbsz:4 blgp:4// 000000003CA4: D3AC7800 000351B0 D3AD8C2C 84B2198C
	s_cselect_b32 s66, s66, 0                                  // 000000003CB4: 85428042
	s_cselect_b32 s68, s68, 0                                  // 000000003CB8: 85448044
	v_mfma_scale_f32_16x16x128_f8f6f4 a[32:35], v[144:147], v[16:19], a[32:35], v176, v168 op_sel_hi:[0,0,0] cbsz:4 blgp:4// 000000003CBC: D3AC6000 180351B0 D3AD8C20 84822190
	s_add_u32 s12, s12, s66                                    // 000000003CCC: 800C420C
	s_addc_u32 s13, 0, s13                                     // 000000003CD0: 820D0D80
	v_mfma_scale_f32_16x16x128_f8f6f4 a[36:39], v[144:147], v[20:23], a[36:39], v176, v168 op_sel_hi:[0,0,0] cbsz:4 blgp:4// 000000003CD4: D3AC7000 180351B0 D3AD8C24 84922990
	s_sub_u32 s14, s14, s66                                    // 000000003CE4: 808E420E
	buffer_load_dwordx4 v[120:123], v187, s[16:19], 0 offen    // 000000003CE8: E05C1000 800478BB
	v_mfma_scale_f32_16x16x128_f8f6f4 a[40:43], v[148:151], v[16:19], a[40:43], v176, v168 op_sel_hi:[0,0,0] cbsz:4 blgp:4// 000000003CF0: D3AC6800 180351B0 D3AD8C28 84A22194
	s_add_u32 s20, s20, s68                                    // 000000003D00: 80144414
	s_addc_u32 s21, 0, s21                                     // 000000003D04: 82151580
	v_mfma_scale_f32_16x16x128_f8f6f4 a[44:47], v[148:151], v[20:23], a[44:47], v176, v168 op_sel_hi:[0,0,0] cbsz:4 blgp:4// 000000003D08: D3AC7800 180351B0 D3AD8C2C 84B22994
	s_sub_u32 s22, s22, s68                                    // 000000003D18: 80964416
	v_mfma_scale_f32_16x16x128_f8f6f4 a[96:99], v[136:139], v[24:27], a[96:99], v176, v169 op_sel_hi:[0,0,0] cbsz:4 blgp:4// 000000003D1C: D3AC6000 000353B0 D3AD8C60 85823188
	v_mfma_scale_f32_16x16x128_f8f6f4 a[100:103], v[136:139], v[28:31], a[100:103], v176, v169 op_sel_hi:[0,0,0] cbsz:4 blgp:4// 000000003D2C: D3AC3000 000353B0 D3AD8C64 85923988
	buffer_load_dwordx4 v[124:127], v188, s[16:19], 0 offen    // 000000003D3C: E05C1000 80047CBC
	v_mfma_scale_f32_16x16x128_f8f6f4 a[104:107], v[140:143], v[24:27], a[104:107], v176, v169 op_sel_hi:[0,0,0] cbsz:4 blgp:4// 000000003D44: D3AC6800 000353B0 D3AD8C68 85A2318C
	v_mfma_scale_f32_16x16x128_f8f6f4 a[108:111], v[140:143], v[28:31], a[108:111], v176, v169 op_sel_hi:[0,0,0] cbsz:4 blgp:4// 000000003D54: D3AC7800 000353B0 D3AD8C6C 85B2398C
	v_mfma_scale_f32_16x16x128_f8f6f4 a[96:99], v[144:147], v[32:35], a[96:99], v176, v169 op_sel_hi:[0,0,0] cbsz:4 blgp:4// 000000003D64: D3AC6000 180353B0 D3AD8C60 85824190
	v_mfma_scale_f32_16x16x128_f8f6f4 a[100:103], v[144:147], v[36:39], a[100:103], v176, v169 op_sel_hi:[0,0,0] cbsz:4 blgp:4// 000000003D74: D3AC7000 180353B0 D3AD8C64 85924990
	buffer_load_dwordx4 v[128:131], v187, s[16:19], 0 offen offset:1024// 000000003D84: E05C1400 800480BB
	v_mfma_scale_f32_16x16x128_f8f6f4 a[104:107], v[148:151], v[32:35], a[104:107], v176, v169 op_sel_hi:[0,0,0] cbsz:4 blgp:4// 000000003D8C: D3AC4800 180353B0 D3AD8C68 85A24194
	v_mfma_scale_f32_16x16x128_f8f6f4 a[108:111], v[148:151], v[36:39], a[108:111], v176, v169 op_sel_hi:[0,0,0] cbsz:4 blgp:4// 000000003D9C: D3AC5800 180353B0 D3AD8C6C 85B24994
	v_mfma_scale_f32_16x16x128_f8f6f4 a[160:163], v[136:139], v[40:43], a[160:163], v176, v170 op_sel_hi:[0,0,0] cbsz:4 blgp:4// 000000003DAC: D3AC4000 000355B0 D3AD8CA0 86825188
	v_mfma_scale_f32_16x16x128_f8f6f4 a[164:167], v[136:139], v[44:47], a[164:167], v176, v170 op_sel_hi:[0,0,0] cbsz:4 blgp:4// 000000003DBC: D3AC5000 000355B0 D3AD8CA4 86925988
	buffer_load_dwordx4 v[132:135], v188, s[16:19], 0 offen offset:1024// 000000003DCC: E05C1400 800484BC
	v_mfma_scale_f32_16x16x128_f8f6f4 a[168:171], v[140:143], v[40:43], a[168:171], v176, v170 op_sel_hi:[0,0,0] cbsz:4 blgp:4// 000000003DD4: D3AC6800 000355B0 D3AD8CA8 86A2518C
	v_mfma_scale_f32_16x16x128_f8f6f4 a[172:175], v[140:143], v[44:47], a[172:175], v176, v170 op_sel_hi:[0,0,0] cbsz:4 blgp:4// 000000003DE4: D3AC5800 000355B0 D3AD8CAC 86B2598C
	v_mfma_scale_f32_16x16x128_f8f6f4 a[160:163], v[144:147], v[48:51], a[160:163], v176, v170 op_sel_hi:[0,0,0] cbsz:4 blgp:4// 000000003DF4: D3AC4000 180355B0 D3AD8CA0 86826190
	v_mfma_scale_f32_16x16x128_f8f6f4 a[164:167], v[144:147], v[52:55], a[164:167], v176, v170 op_sel_hi:[0,0,0] cbsz:4 blgp:4// 000000003E04: D3AC7000 180355B0 D3AD8CA4 86926990
	buffer_load_dword v175, v194, s[24:27], 0 offen            // 000000003E14: E0501000 8006AFC2
	v_mfma_scale_f32_16x16x128_f8f6f4 a[168:171], v[148:151], v[48:51], a[168:171], v176, v170 op_sel_hi:[0,0,0] cbsz:4 blgp:4// 000000003E1C: D3AC4800 180355B0 D3AD8CA8 86A26194
	v_mfma_scale_f32_16x16x128_f8f6f4 a[172:175], v[148:151], v[52:55], a[172:175], v176, v170 op_sel_hi:[0,0,0] cbsz:4 blgp:4// 000000003E2C: D3AC5800 180355B0 D3AD8CAC 86B26994
	s_waitcnt vmcnt(14)                                        // 000000003E3C: BF8C0F7E
	v_mfma_scale_f32_16x16x128_f8f6f4 a[48:51], v[152:155], v[8:11], a[48:51], v177, v168 op_sel_hi:[0,0,0] cbsz:4 blgp:4// 000000003E40: D3AC6000 000351B1 D3AD8C30 84C21198
	s_addk_i32 s60, 0x100                                      // 000000003E50: B73C0100
	s_cmp_lt_i32 s60, s61                                      // 000000003E54: BF043D3C
	v_mfma_scale_f32_16x16x128_f8f6f4 a[52:55], v[152:155], v[12:15], a[52:55], v177, v168 op_sel_hi:[0,0,0] cbsz:4 blgp:4// 000000003E58: D3AC7000 000351B1 D3AD8C34 84D21998
	buffer_load_dwordx4 v[136:139], v189, s[16:19], 0 offen    // 000000003E68: E05C1000 800488BD
	v_mfma_scale_f32_16x16x128_f8f6f4 a[56:59], v[156:159], v[8:11], a[56:59], v177, v168 op_sel_hi:[0,0,0] cbsz:4 blgp:4// 000000003E70: D3AC6800 000351B1 D3AD8C38 84E2119C
	v_mfma_scale_f32_16x16x128_f8f6f4 a[60:63], v[156:159], v[12:15], a[60:63], v177, v168 op_sel_hi:[0,0,0] cbsz:4 blgp:4// 000000003E80: D3AC5800 000351B1 D3AD8C3C 84F2199C
	v_mfma_scale_f32_16x16x128_f8f6f4 a[48:51], v[160:163], v[16:19], a[48:51], v177, v168 op_sel_hi:[0,0,0] cbsz:4 blgp:4// 000000003E90: D3AC4000 180351B1 D3AD8C30 84C221A0
	v_mfma_scale_f32_16x16x128_f8f6f4 a[52:55], v[160:163], v[20:23], a[52:55], v177, v168 op_sel_hi:[0,0,0] cbsz:4 blgp:4// 000000003EA0: D3AC5000 180351B1 D3AD8C34 84D229A0
	buffer_load_dwordx4 v[140:143], v190, s[16:19], 0 offen    // 000000003EB0: E05C1000 80048CBE
	v_mfma_scale_f32_16x16x128_f8f6f4 a[56:59], v[164:167], v[16:19], a[56:59], v177, v168 op_sel_hi:[0,0,0] cbsz:4 blgp:4// 000000003EB8: D3AC6800 180351B1 D3AD8C38 84E221A4
	v_mfma_scale_f32_16x16x128_f8f6f4 a[60:63], v[164:167], v[20:23], a[60:63], v177, v168 op_sel_hi:[0,0,0] cbsz:4 blgp:4// 000000003EC8: D3AC7800 180351B1 D3AD8C3C 84F229A4
	s_waitcnt vmcnt(13)                                        // 000000003ED8: BF8C0F7D
	s_barrier                                                  // 000000003EDC: BF8A0000
	v_mfma_scale_f32_16x16x128_f8f6f4 a[112:115], v[152:155], v[24:27], a[112:115], v177, v169 op_sel_hi:[0,0,0] cbsz:4 blgp:4// 000000003EE0: D3AC6000 000353B1 D3AD8C70 85C23198
	ds_read_b128 v[56:59], v182                                // 000000003EF0: D9FE0000 380000B6
	v_mfma_scale_f32_16x16x128_f8f6f4 a[116:119], v[152:155], v[28:31], a[116:119], v177, v169 op_sel_hi:[0,0,0] cbsz:4 blgp:4// 000000003EF8: D3AC3000 000353B1 D3AD8C74 85D23998
	buffer_load_dwordx4 v[144:147], v189, s[16:19], 0 offen offset:1024// 000000003F08: E05C1400 800490BD
	v_mfma_scale_f32_16x16x128_f8f6f4 a[120:123], v[156:159], v[24:27], a[120:123], v177, v169 op_sel_hi:[0,0,0] cbsz:4 blgp:4// 000000003F10: D3AC2800 000353B1 D3AD8C78 85E2319C
	ds_read_b128 v[64:67], v182 offset:64                      // 000000003F20: D9FE0040 400000B6
	v_mfma_scale_f32_16x16x128_f8f6f4 a[124:127], v[156:159], v[28:31], a[124:127], v177, v169 op_sel_hi:[0,0,0] cbsz:4 blgp:4// 000000003F28: D3AC7800 000353B1 D3AD8C7C 85F2399C
	v_mfma_scale_f32_16x16x128_f8f6f4 a[112:115], v[160:163], v[32:35], a[112:115], v177, v169 op_sel_hi:[0,0,0] cbsz:4 blgp:4// 000000003F38: D3AC2000 180353B1 D3AD8C70 85C241A0
	ds_read_b128 v[60:63], v182 offset:512                     // 000000003F48: D9FE0200 3C0000B6
	v_mfma_scale_f32_16x16x128_f8f6f4 a[116:119], v[160:163], v[36:39], a[116:119], v177, v169 op_sel_hi:[0,0,0] cbsz:4 blgp:4// 000000003F50: D3AC5000 180353B1 D3AD8C74 85D249A0
	buffer_load_dwordx4 v[148:151], v190, s[16:19], 0 offen offset:1024// 000000003F60: E05C1400 800494BE
	v_mfma_scale_f32_16x16x128_f8f6f4 a[120:123], v[164:167], v[32:35], a[120:123], v177, v169 op_sel_hi:[0,0,0] cbsz:4 blgp:4// 000000003F68: D3AC6800 180353B1 D3AD8C78 85E241A4
	ds_read_b128 v[68:71], v182 offset:576                     // 000000003F78: D9FE0240 440000B6
	v_mfma_scale_f32_16x16x128_f8f6f4 a[124:127], v[164:167], v[36:39], a[124:127], v177, v169 op_sel_hi:[0,0,0] cbsz:4 blgp:4// 000000003F80: D3AC7800 180353B1 D3AD8C7C 85F249A4
	ds_read_b32 v171, v184 offset:1024                         // 000000003F90: D86C0400 AB0000B8
	v_mfma_scale_f32_16x16x128_f8f6f4 a[176:179], v[152:155], v[40:43], a[176:179], v177, v170 op_sel_hi:[0,0,0] cbsz:4 blgp:4// 000000003F98: D3AC6000 000355B1 D3AD8CB0 86C25198
	ds_read_b128 v[72:75], v182 offset:4224                    // 000000003FA8: D9FE1080 480000B6
	v_mfma_scale_f32_16x16x128_f8f6f4 a[180:183], v[152:155], v[44:47], a[180:183], v177, v170 op_sel_hi:[0,0,0] cbsz:4 blgp:4// 000000003FB0: D3AC7000 000355B1 D3AD8CB4 86D25998
	buffer_load_dword v176, v195, s[24:27], 0 offen            // 000000003FC0: E0501000 8006B0C3
	v_mfma_scale_f32_16x16x128_f8f6f4 a[184:187], v[156:159], v[40:43], a[184:187], v177, v170 op_sel_hi:[0,0,0] cbsz:4 blgp:4// 000000003FC8: D3AC6800 000355B1 D3AD8CB8 86E2519C
	ds_read_b128 v[80:83], v182 offset:4288                    // 000000003FD8: D9FE10C0 500000B6
	v_mfma_scale_f32_16x16x128_f8f6f4 a[188:191], v[156:159], v[44:47], a[188:191], v177, v170 op_sel_hi:[0,0,0] cbsz:4 blgp:4// 000000003FE0: D3AC7800 000355B1 D3AD8CBC 86F2599C
	v_mfma_scale_f32_16x16x128_f8f6f4 a[176:179], v[160:163], v[48:51], a[176:179], v177, v170 op_sel_hi:[0,0,0] cbsz:4 blgp:4// 000000003FF0: D3AC6000 180355B1 D3AD8CB0 86C261A0
	ds_read_b128 v[76:79], v182 offset:4736                    // 000000004000: D9FE1280 4C0000B6
	v_mfma_scale_f32_16x16x128_f8f6f4 a[180:183], v[160:163], v[52:55], a[180:183], v177, v170 op_sel_hi:[0,0,0] cbsz:4 blgp:4// 000000004008: D3AC7000 180355B1 D3AD8CB4 86D269A0
	v_mfma_scale_f32_16x16x128_f8f6f4 a[184:187], v[164:167], v[48:51], a[184:187], v177, v170 op_sel_hi:[0,0,0] cbsz:4 blgp:4// 000000004018: D3AC6800 180355B1 D3AD8CB8 86E261A4
	ds_read_b128 v[84:87], v182 offset:4800                    // 000000004028: D9FE12C0 540000B6
	v_mfma_scale_f32_16x16x128_f8f6f4 a[188:191], v[164:167], v[52:55], a[188:191], v177, v170 op_sel_hi:[0,0,0] cbsz:4 blgp:4// 000000004030: D3AC7800 180355B1 D3AD8CBC 86F269A4
	ds_read_b32 v172, v184 offset:1280                         // 000000004040: D86C0500 AC0000B8
	s_cbranch_scc0 label_0AF9                                  // 000000004048: BF8405E6
	s_waitcnt vmcnt(10) lgkmcnt(5)                             // 00000000404C: BF8C057A
	s_barrier                                                  // 000000004050: BF8A0000
	v_mfma_scale_f32_16x16x128_f8f6f4 a[0:3], v[104:107], v[56:59], a[0:3], v174, v171 op_sel_hi:[0,0,0] cbsz:4 blgp:4// 000000004054: D3AC6000 000357AE D3AD8C00 84027168
	s_add_u32 s63, 0x100, s60                                  // 000000004064: 803F3CFF 00000100
	ds_read_b128 v[88:91], v182 offset:8448                    // 00000000406C: D9FE2100 580000B6
	v_mfma_scale_f32_16x16x128_f8f6f4 a[4:7], v[104:107], v[60:63], a[4:7], v174, v171 op_sel_hi:[0,0,0] cbsz:4 blgp:4// 000000004074: D3AC7000 000357AE D3AD8C04 84127968
	s_cmp_lt_u32 s63, s61                                      // 000000004084: BF0A3D3F
	buffer_load_dwordx4 v[152:155], v191, s[16:19], 0 offen    // 000000004088: E05C1000 800498BF
	v_mfma_scale_f32_16x16x128_f8f6f4 a[8:11], v[108:111], v[56:59], a[8:11], v174, v171 op_sel_hi:[0,0,0] cbsz:4 blgp:4// 000000004090: D3AC6800 000357AE D3AD8C08 8422716C
	s_cselect_b32 s67, s67, 0                                  // 0000000040A0: 85438043
	ds_read_b128 v[96:99], v182 offset:8512                    // 0000000040A4: D9FE2140 600000B6
	v_mfma_scale_f32_16x16x128_f8f6f4 a[12:15], v[108:111], v[60:63], a[12:15], v174, v171 op_sel_hi:[0,0,0] cbsz:4 blgp:4// 0000000040AC: D3AC7800 000357AE D3AD8C0C 8432796C
	s_cselect_b32 s69, s69, 0                                  // 0000000040BC: 85458045
	v_mfma_scale_f32_16x16x128_f8f6f4 a[0:3], v[112:115], v[64:67], a[0:3], v174, v171 op_sel_hi:[0,0,0] cbsz:4 blgp:4// 0000000040C0: D3AC6000 180357AE D3AD8C00 84028170
	ds_read_b128 v[92:95], v182 offset:8960                    // 0000000040D0: D9FE2300 5C0000B6
	v_mfma_scale_f32_16x16x128_f8f6f4 a[4:7], v[112:115], v[68:71], a[4:7], v174, v171 op_sel_hi:[0,0,0] cbsz:4 blgp:4// 0000000040D8: D3AC7000 180357AE D3AD8C04 84128970
	buffer_load_dwordx4 v[156:159], v192, s[16:19], 0 offen    // 0000000040E8: E05C1000 80049CC0
	v_mfma_scale_f32_16x16x128_f8f6f4 a[8:11], v[116:119], v[64:67], a[8:11], v174, v171 op_sel_hi:[0,0,0] cbsz:4 blgp:4// 0000000040F0: D3AC6800 180357AE D3AD8C08 84228174
	ds_read_b128 v[100:103], v182 offset:9024                  // 000000004100: D9FE2340 640000B6
	v_mfma_scale_f32_16x16x128_f8f6f4 a[12:15], v[116:119], v[68:71], a[12:15], v174, v171 op_sel_hi:[0,0,0] cbsz:4 blgp:4// 000000004108: D3AC7800 180357AE D3AD8C0C 84328974
	ds_read_b32 v173, v184 offset:1536                         // 000000004118: D86C0600 AD0000B8
	s_waitcnt lgkmcnt(5)                                       // 000000004120: BF8CC57F
	v_mfma_scale_f32_16x16x128_f8f6f4 a[64:67], v[104:107], v[72:75], a[64:67], v174, v172 op_sel_hi:[0,0,0] cbsz:4 blgp:4// 000000004124: D3AC6000 000359AE D3AD8C40 85029168
	v_mfma_scale_f32_16x16x128_f8f6f4 a[68:71], v[104:107], v[76:79], a[68:71], v174, v172 op_sel_hi:[0,0,0] cbsz:4 blgp:4// 000000004134: D3AC7000 000359AE D3AD8C44 85129968
	buffer_load_dwordx4 v[160:163], v191, s[16:19], 0 offen offset:1024// 000000004144: E05C1400 8004A0BF
	v_mfma_scale_f32_16x16x128_f8f6f4 a[72:75], v[108:111], v[72:75], a[72:75], v174, v172 op_sel_hi:[0,0,0] cbsz:4 blgp:4// 00000000414C: D3AC6800 000359AE D3AD8C48 8522916C
	v_mfma_scale_f32_16x16x128_f8f6f4 a[76:79], v[108:111], v[76:79], a[76:79], v174, v172 op_sel_hi:[0,0,0] cbsz:4 blgp:4// 00000000415C: D3AC7800 000359AE D3AD8C4C 8532996C
	v_mfma_scale_f32_16x16x128_f8f6f4 a[64:67], v[112:115], v[80:83], a[64:67], v174, v172 op_sel_hi:[0,0,0] cbsz:4 blgp:4// 00000000416C: D3AC6000 180359AE D3AD8C40 8502A170
	v_mfma_scale_f32_16x16x128_f8f6f4 a[68:71], v[112:115], v[84:87], a[68:71], v174, v172 op_sel_hi:[0,0,0] cbsz:4 blgp:4// 00000000417C: D3AC7000 180359AE D3AD8C44 8512A970
	buffer_load_dwordx4 v[164:167], v192, s[16:19], 0 offen offset:1024// 00000000418C: E05C1400 8004A4C0
	v_mfma_scale_f32_16x16x128_f8f6f4 a[72:75], v[116:119], v[80:83], a[72:75], v174, v172 op_sel_hi:[0,0,0] cbsz:4 blgp:4// 000000004194: D3AC6800 180359AE D3AD8C48 8522A174
	v_mfma_scale_f32_16x16x128_f8f6f4 a[76:79], v[116:119], v[84:87], a[76:79], v174, v172 op_sel_hi:[0,0,0] cbsz:4 blgp:4// 0000000041A4: D3AC7800 180359AE D3AD8C4C 8532A974
	s_waitcnt lgkmcnt(0)                                       // 0000000041B4: BF8CC07F
	v_mfma_scale_f32_16x16x128_f8f6f4 a[128:131], v[104:107], v[88:91], a[128:131], v174, v173 op_sel_hi:[0,0,0] cbsz:4 blgp:4// 0000000041B8: D3AC6000 00035BAE D3AD8C80 8602B168
	v_mfma_scale_f32_16x16x128_f8f6f4 a[132:135], v[104:107], v[92:95], a[132:135], v174, v173 op_sel_hi:[0,0,0] cbsz:4 blgp:4// 0000000041C8: D3AC7000 00035BAE D3AD8C84 8612B968
	buffer_load_dword v177, v196, s[24:27], 0 offen            // 0000000041D8: E0501000 8006B1C4
	v_mfma_scale_f32_16x16x128_f8f6f4 a[136:139], v[108:111], v[88:91], a[136:139], v174, v173 op_sel_hi:[0,0,0] cbsz:4 blgp:4// 0000000041E0: D3AC6800 00035BAE D3AD8C88 8622B16C
	s_add_u32 s16, s16, s67                                    // 0000000041F0: 80104310
	s_addc_u32 s17, 0, s17                                     // 0000000041F4: 82111180
	v_mfma_scale_f32_16x16x128_f8f6f4 a[140:143], v[108:111], v[92:95], a[140:143], v174, v173 op_sel_hi:[0,0,0] cbsz:4 blgp:4// 0000000041F8: D3AC7800 00035BAE D3AD8C8C 8632B96C
	s_sub_u32 s18, s18, s67                                    // 000000004208: 80924312
	s_add_u32 s24, s24, s69                                    // 00000000420C: 80184518
	v_mfma_scale_f32_16x16x128_f8f6f4 a[128:131], v[112:115], v[96:99], a[128:131], v174, v173 op_sel_hi:[0,0,0] cbsz:4 blgp:4// 000000004210: D3AC6000 18035BAE D3AD8C80 8602C170
	s_addc_u32 s25, 0, s25                                     // 000000004220: 82191980
	s_sub_u32 s26, s26, s69                                    // 000000004224: 809A451A
	v_mfma_scale_f32_16x16x128_f8f6f4 a[132:135], v[112:115], v[100:103], a[132:135], v174, v173 op_sel_hi:[0,0,0] cbsz:4 blgp:4// 000000004228: D3AC7000 18035BAE D3AD8C84 8612C970
	s_add_u32 m0, 0, s65                                       // 000000004238: 807C4180
	buffer_load_dword v183, s[20:23], 0 offen lds              // 00000000423C: E0511000 800500B7
	v_mfma_scale_f32_16x16x128_f8f6f4 a[136:139], v[116:119], v[96:99], a[136:139], v174, v173 op_sel_hi:[0,0,0] cbsz:4 blgp:4// 000000004244: D3AC6800 18035BAE D3AD8C88 8622C174
	v_mfma_scale_f32_16x16x128_f8f6f4 a[140:143], v[116:119], v[100:103], a[140:143], v174, v173 op_sel_hi:[0,0,0] cbsz:4 blgp:4// 000000004254: D3AC7800 18035BAE D3AD8C8C 8632C974
	s_waitcnt vmcnt(11)                                        // 000000004264: BF8C0F7B
	v_mfma_scale_f32_16x16x128_f8f6f4 a[16:19], v[120:123], v[56:59], a[16:19], v175, v171 op_sel_hi:[0,0,0] cbsz:4 blgp:4// 000000004268: D3AC6000 000357AF D3AD8C10 84427178
	v_mfma_scale_f32_16x16x128_f8f6f4 a[20:23], v[120:123], v[60:63], a[20:23], v175, v171 op_sel_hi:[0,0,0] cbsz:4 blgp:4// 000000004278: D3AC7000 000357AF D3AD8C14 84527978
	s_add_u32 m0, 0, s64                                       // 000000004288: 807C4080
	buffer_load_dwordx4 v178, s[12:15], 0 offen lds            // 00000000428C: E05D1000 800300B2
	v_mfma_scale_f32_16x16x128_f8f6f4 a[24:27], v[124:127], v[56:59], a[24:27], v175, v171 op_sel_hi:[0,0,0] cbsz:4 blgp:4// 000000004294: D3AC6800 000357AF D3AD8C18 8462717C
	v_mfma_scale_f32_16x16x128_f8f6f4 a[28:31], v[124:127], v[60:63], a[28:31], v175, v171 op_sel_hi:[0,0,0] cbsz:4 blgp:4// 0000000042A4: D3AC7800 000357AF D3AD8C1C 8472797C
	s_add_u32 m0, 0x1080, s64                                  // 0000000042B4: 807C40FF 00001080
	buffer_load_dwordx4 v179, s[12:15], 0 offen lds            // 0000000042BC: E05D1000 800300B3
	v_mfma_scale_f32_16x16x128_f8f6f4 a[16:19], v[128:131], v[64:67], a[16:19], v175, v171 op_sel_hi:[0,0,0] cbsz:4 blgp:4// 0000000042C4: D3AC6000 180357AF D3AD8C10 84428180
	v_mfma_scale_f32_16x16x128_f8f6f4 a[20:23], v[128:131], v[68:71], a[20:23], v175, v171 op_sel_hi:[0,0,0] cbsz:4 blgp:4// 0000000042D4: D3AC7000 180357AF D3AD8C14 84528980
	buffer_load_dwordx4 v[104:107], v185, s[16:19], 0 offen    // 0000000042E4: E05C1000 800468B9
	v_mfma_scale_f32_16x16x128_f8f6f4 a[24:27], v[132:135], v[64:67], a[24:27], v175, v171 op_sel_hi:[0,0,0] cbsz:4 blgp:4// 0000000042EC: D3AC6800 180357AF D3AD8C18 84628184
	v_mfma_scale_f32_16x16x128_f8f6f4 a[28:31], v[132:135], v[68:71], a[28:31], v175, v171 op_sel_hi:[0,0,0] cbsz:4 blgp:4// 0000000042FC: D3AC7800 180357AF D3AD8C1C 84728984
	v_mfma_scale_f32_16x16x128_f8f6f4 a[80:83], v[120:123], v[72:75], a[80:83], v175, v172 op_sel_hi:[0,0,0] cbsz:4 blgp:4// 00000000430C: D3AC6000 000359AF D3AD8C50 85429178
	v_mfma_scale_f32_16x16x128_f8f6f4 a[84:87], v[120:123], v[76:79], a[84:87], v175, v172 op_sel_hi:[0,0,0] cbsz:4 blgp:4// 00000000431C: D3AC7000 000359AF D3AD8C54 85529978
	buffer_load_dwordx4 v[108:111], v186, s[16:19], 0 offen    // 00000000432C: E05C1000 80046CBA
	v_mfma_scale_f32_16x16x128_f8f6f4 a[88:91], v[124:127], v[72:75], a[88:91], v175, v172 op_sel_hi:[0,0,0] cbsz:4 blgp:4// 000000004334: D3AC6800 000359AF D3AD8C58 8562917C
	v_mfma_scale_f32_16x16x128_f8f6f4 a[92:95], v[124:127], v[76:79], a[92:95], v175, v172 op_sel_hi:[0,0,0] cbsz:4 blgp:4// 000000004344: D3AC7800 000359AF D3AD8C5C 8572997C
	v_mfma_scale_f32_16x16x128_f8f6f4 a[80:83], v[128:131], v[80:83], a[80:83], v175, v172 op_sel_hi:[0,0,0] cbsz:4 blgp:4// 000000004354: D3AC6000 180359AF D3AD8C50 8542A180
	v_mfma_scale_f32_16x16x128_f8f6f4 a[84:87], v[128:131], v[84:87], a[84:87], v175, v172 op_sel_hi:[0,0,0] cbsz:4 blgp:4// 000000004364: D3AC7000 180359AF D3AD8C54 8552A980
	buffer_load_dwordx4 v[112:115], v185, s[16:19], 0 offen offset:1024// 000000004374: E05C1400 800470B9
	v_mfma_scale_f32_16x16x128_f8f6f4 a[88:91], v[132:135], v[80:83], a[88:91], v175, v172 op_sel_hi:[0,0,0] cbsz:4 blgp:4// 00000000437C: D3AC6800 180359AF D3AD8C58 8562A184
	v_mfma_scale_f32_16x16x128_f8f6f4 a[92:95], v[132:135], v[84:87], a[92:95], v175, v172 op_sel_hi:[0,0,0] cbsz:4 blgp:4// 00000000438C: D3AC7800 180359AF D3AD8C5C 8572A984
	v_mfma_scale_f32_16x16x128_f8f6f4 a[144:147], v[120:123], v[88:91], a[144:147], v175, v173 op_sel_hi:[0,0,0] cbsz:4 blgp:4// 00000000439C: D3AC6000 00035BAF D3AD8C90 8642B178
	v_mfma_scale_f32_16x16x128_f8f6f4 a[148:151], v[120:123], v[92:95], a[148:151], v175, v173 op_sel_hi:[0,0,0] cbsz:4 blgp:4// 0000000043AC: D3AC7000 00035BAF D3AD8C94 8652B978
	buffer_load_dwordx4 v[116:119], v186, s[16:19], 0 offen offset:1024// 0000000043BC: E05C1400 800474BA
	v_mfma_scale_f32_16x16x128_f8f6f4 a[152:155], v[124:127], v[88:91], a[152:155], v175, v173 op_sel_hi:[0,0,0] cbsz:4 blgp:4// 0000000043C4: D3AC6800 00035BAF D3AD8C98 8662B17C
	v_mfma_scale_f32_16x16x128_f8f6f4 a[156:159], v[124:127], v[92:95], a[156:159], v175, v173 op_sel_hi:[0,0,0] cbsz:4 blgp:4// 0000000043D4: D3AC7800 00035BAF D3AD8C9C 8672B97C
	v_mfma_scale_f32_16x16x128_f8f6f4 a[144:147], v[128:131], v[96:99], a[144:147], v175, v173 op_sel_hi:[0,0,0] cbsz:4 blgp:4// 0000000043E4: D3AC6000 18035BAF D3AD8C90 8642C180
	v_mfma_scale_f32_16x16x128_f8f6f4 a[148:151], v[128:131], v[100:103], a[148:151], v175, v173 op_sel_hi:[0,0,0] cbsz:4 blgp:4// 0000000043F4: D3AC7000 18035BAF D3AD8C94 8652C980
	buffer_load_dword v174, v193, s[24:27], 0 offen            // 000000004404: E0501000 8006AEC1
	v_mfma_scale_f32_16x16x128_f8f6f4 a[152:155], v[132:135], v[96:99], a[152:155], v175, v173 op_sel_hi:[0,0,0] cbsz:4 blgp:4// 00000000440C: D3AC6800 18035BAF D3AD8C98 8662C184
	v_mfma_scale_f32_16x16x128_f8f6f4 a[156:159], v[132:135], v[100:103], a[156:159], v175, v173 op_sel_hi:[0,0,0] cbsz:4 blgp:4// 00000000441C: D3AC7800 18035BAF D3AD8C9C 8672C984
	s_waitcnt vmcnt(13)                                        // 00000000442C: BF8C0F7D
	v_mfma_scale_f32_16x16x128_f8f6f4 a[32:35], v[136:139], v[56:59], a[32:35], v176, v171 op_sel_hi:[0,0,0] cbsz:4 blgp:4// 000000004430: D3AC6000 000357B0 D3AD8C20 84827188
	v_mfma_scale_f32_16x16x128_f8f6f4 a[36:39], v[136:139], v[60:63], a[36:39], v176, v171 op_sel_hi:[0,0,0] cbsz:4 blgp:4// 000000004440: D3AC7000 000357B0 D3AD8C24 84927988
	s_add_u32 m0, 0x2100, s64                                  // 000000004450: 807C40FF 00002100
	buffer_load_dwordx4 v180, s[12:15], 0 offen lds            // 000000004458: E05D1000 800300B4
	v_mfma_scale_f32_16x16x128_f8f6f4 a[40:43], v[140:143], v[56:59], a[40:43], v176, v171 op_sel_hi:[0,0,0] cbsz:4 blgp:4// 000000004460: D3AC6800 000357B0 D3AD8C28 84A2718C
	s_add_u32 s62, 0x200, s60                                  // 000000004470: 803E3CFF 00000200
	s_cmp_lt_u32 s62, s61                                      // 000000004478: BF0A3D3E
	v_mfma_scale_f32_16x16x128_f8f6f4 a[44:47], v[140:143], v[60:63], a[44:47], v176, v171 op_sel_hi:[0,0,0] cbsz:4 blgp:4// 00000000447C: D3AC7800 000357B0 D3AD8C2C 84B2798C
	s_cselect_b32 s66, s66, 0                                  // 00000000448C: 85428042
	s_cselect_b32 s68, s68, 0                                  // 000000004490: 85448044
	v_mfma_scale_f32_16x16x128_f8f6f4 a[32:35], v[144:147], v[64:67], a[32:35], v176, v171 op_sel_hi:[0,0,0] cbsz:4 blgp:4// 000000004494: D3AC6000 180357B0 D3AD8C20 84828190
	s_add_u32 s12, s12, s66                                    // 0000000044A4: 800C420C
	s_addc_u32 s13, 0, s13                                     // 0000000044A8: 820D0D80
	v_mfma_scale_f32_16x16x128_f8f6f4 a[36:39], v[144:147], v[68:71], a[36:39], v176, v171 op_sel_hi:[0,0,0] cbsz:4 blgp:4// 0000000044AC: D3AC7000 180357B0 D3AD8C24 84928990
	s_sub_u32 s14, s14, s66                                    // 0000000044BC: 808E420E
	buffer_load_dwordx4 v[120:123], v187, s[16:19], 0 offen    // 0000000044C0: E05C1000 800478BB
	v_mfma_scale_f32_16x16x128_f8f6f4 a[40:43], v[148:151], v[64:67], a[40:43], v176, v171 op_sel_hi:[0,0,0] cbsz:4 blgp:4// 0000000044C8: D3AC6800 180357B0 D3AD8C28 84A28194
	s_add_u32 s20, s20, s68                                    // 0000000044D8: 80144414
	s_addc_u32 s21, 0, s21                                     // 0000000044DC: 82151580
	v_mfma_scale_f32_16x16x128_f8f6f4 a[44:47], v[148:151], v[68:71], a[44:47], v176, v171 op_sel_hi:[0,0,0] cbsz:4 blgp:4// 0000000044E0: D3AC7800 180357B0 D3AD8C2C 84B28994
	s_sub_u32 s22, s22, s68                                    // 0000000044F0: 80964416
	v_mfma_scale_f32_16x16x128_f8f6f4 a[96:99], v[136:139], v[72:75], a[96:99], v176, v172 op_sel_hi:[0,0,0] cbsz:4 blgp:4// 0000000044F4: D3AC6000 000359B0 D3AD8C60 85829188
	v_mfma_scale_f32_16x16x128_f8f6f4 a[100:103], v[136:139], v[76:79], a[100:103], v176, v172 op_sel_hi:[0,0,0] cbsz:4 blgp:4// 000000004504: D3AC7000 000359B0 D3AD8C64 85929988
	buffer_load_dwordx4 v[124:127], v188, s[16:19], 0 offen    // 000000004514: E05C1000 80047CBC
	v_mfma_scale_f32_16x16x128_f8f6f4 a[104:107], v[140:143], v[72:75], a[104:107], v176, v172 op_sel_hi:[0,0,0] cbsz:4 blgp:4// 00000000451C: D3AC6800 000359B0 D3AD8C68 85A2918C
	v_mfma_scale_f32_16x16x128_f8f6f4 a[108:111], v[140:143], v[76:79], a[108:111], v176, v172 op_sel_hi:[0,0,0] cbsz:4 blgp:4// 00000000452C: D3AC7800 000359B0 D3AD8C6C 85B2998C
	v_mfma_scale_f32_16x16x128_f8f6f4 a[96:99], v[144:147], v[80:83], a[96:99], v176, v172 op_sel_hi:[0,0,0] cbsz:4 blgp:4// 00000000453C: D3AC6000 180359B0 D3AD8C60 8582A190
	v_mfma_scale_f32_16x16x128_f8f6f4 a[100:103], v[144:147], v[84:87], a[100:103], v176, v172 op_sel_hi:[0,0,0] cbsz:4 blgp:4// 00000000454C: D3AC7000 180359B0 D3AD8C64 8592A990
	buffer_load_dwordx4 v[128:131], v187, s[16:19], 0 offen offset:1024// 00000000455C: E05C1400 800480BB
	v_mfma_scale_f32_16x16x128_f8f6f4 a[104:107], v[148:151], v[80:83], a[104:107], v176, v172 op_sel_hi:[0,0,0] cbsz:4 blgp:4// 000000004564: D3AC6800 180359B0 D3AD8C68 85A2A194
	v_mfma_scale_f32_16x16x128_f8f6f4 a[108:111], v[148:151], v[84:87], a[108:111], v176, v172 op_sel_hi:[0,0,0] cbsz:4 blgp:4// 000000004574: D3AC7800 180359B0 D3AD8C6C 85B2A994
	v_mfma_scale_f32_16x16x128_f8f6f4 a[160:163], v[136:139], v[88:91], a[160:163], v176, v173 op_sel_hi:[0,0,0] cbsz:4 blgp:4// 000000004584: D3AC6000 00035BB0 D3AD8CA0 8682B188
	v_mfma_scale_f32_16x16x128_f8f6f4 a[164:167], v[136:139], v[92:95], a[164:167], v176, v173 op_sel_hi:[0,0,0] cbsz:4 blgp:4// 000000004594: D3AC7000 00035BB0 D3AD8CA4 8692B988
	buffer_load_dwordx4 v[132:135], v188, s[16:19], 0 offen offset:1024// 0000000045A4: E05C1400 800484BC
	v_mfma_scale_f32_16x16x128_f8f6f4 a[168:171], v[140:143], v[88:91], a[168:171], v176, v173 op_sel_hi:[0,0,0] cbsz:4 blgp:4// 0000000045AC: D3AC6800 00035BB0 D3AD8CA8 86A2B18C
	v_mfma_scale_f32_16x16x128_f8f6f4 a[172:175], v[140:143], v[92:95], a[172:175], v176, v173 op_sel_hi:[0,0,0] cbsz:4 blgp:4// 0000000045BC: D3AC7800 00035BB0 D3AD8CAC 86B2B98C
	v_mfma_scale_f32_16x16x128_f8f6f4 a[160:163], v[144:147], v[96:99], a[160:163], v176, v173 op_sel_hi:[0,0,0] cbsz:4 blgp:4// 0000000045CC: D3AC6000 18035BB0 D3AD8CA0 8682C190
	v_mfma_scale_f32_16x16x128_f8f6f4 a[164:167], v[144:147], v[100:103], a[164:167], v176, v173 op_sel_hi:[0,0,0] cbsz:4 blgp:4// 0000000045DC: D3AC7000 18035BB0 D3AD8CA4 8692C990
	buffer_load_dword v175, v194, s[24:27], 0 offen            // 0000000045EC: E0501000 8006AFC2
	v_mfma_scale_f32_16x16x128_f8f6f4 a[168:171], v[148:151], v[96:99], a[168:171], v176, v173 op_sel_hi:[0,0,0] cbsz:4 blgp:4// 0000000045F4: D3AC6800 18035BB0 D3AD8CA8 86A2C194
	v_mfma_scale_f32_16x16x128_f8f6f4 a[172:175], v[148:151], v[100:103], a[172:175], v176, v173 op_sel_hi:[0,0,0] cbsz:4 blgp:4// 000000004604: D3AC7800 18035BB0 D3AD8CAC 86B2C994
	s_waitcnt vmcnt(14)                                        // 000000004614: BF8C0F7E
	v_mfma_scale_f32_16x16x128_f8f6f4 a[48:51], v[152:155], v[56:59], a[48:51], v177, v171 op_sel_hi:[0,0,0] cbsz:4 blgp:4// 000000004618: D3AC6000 000357B1 D3AD8C30 84C27198
	s_addk_i32 s60, 0x100                                      // 000000004628: B73C0100
	s_cmp_lt_i32 s60, s61                                      // 00000000462C: BF043D3C
	v_mfma_scale_f32_16x16x128_f8f6f4 a[52:55], v[152:155], v[60:63], a[52:55], v177, v171 op_sel_hi:[0,0,0] cbsz:4 blgp:4// 000000004630: D3AC7000 000357B1 D3AD8C34 84D27998
	buffer_load_dwordx4 v[136:139], v189, s[16:19], 0 offen    // 000000004640: E05C1000 800488BD
	v_mfma_scale_f32_16x16x128_f8f6f4 a[56:59], v[156:159], v[56:59], a[56:59], v177, v171 op_sel_hi:[0,0,0] cbsz:4 blgp:4// 000000004648: D3AC6800 000357B1 D3AD8C38 84E2719C
	v_mfma_scale_f32_16x16x128_f8f6f4 a[60:63], v[156:159], v[60:63], a[60:63], v177, v171 op_sel_hi:[0,0,0] cbsz:4 blgp:4// 000000004658: D3AC7800 000357B1 D3AD8C3C 84F2799C
	v_mfma_scale_f32_16x16x128_f8f6f4 a[48:51], v[160:163], v[64:67], a[48:51], v177, v171 op_sel_hi:[0,0,0] cbsz:4 blgp:4// 000000004668: D3AC6000 180357B1 D3AD8C30 84C281A0
	v_mfma_scale_f32_16x16x128_f8f6f4 a[52:55], v[160:163], v[68:71], a[52:55], v177, v171 op_sel_hi:[0,0,0] cbsz:4 blgp:4// 000000004678: D3AC7000 180357B1 D3AD8C34 84D289A0
	buffer_load_dwordx4 v[140:143], v190, s[16:19], 0 offen    // 000000004688: E05C1000 80048CBE
	v_mfma_scale_f32_16x16x128_f8f6f4 a[56:59], v[164:167], v[64:67], a[56:59], v177, v171 op_sel_hi:[0,0,0] cbsz:4 blgp:4// 000000004690: D3AC6800 180357B1 D3AD8C38 84E281A4
	v_mfma_scale_f32_16x16x128_f8f6f4 a[60:63], v[164:167], v[68:71], a[60:63], v177, v171 op_sel_hi:[0,0,0] cbsz:4 blgp:4// 0000000046A0: D3AC7800 180357B1 D3AD8C3C 84F289A4
	s_waitcnt vmcnt(13)                                        // 0000000046B0: BF8C0F7D
	s_barrier                                                  // 0000000046B4: BF8A0000
	v_mfma_scale_f32_16x16x128_f8f6f4 a[112:115], v[152:155], v[72:75], a[112:115], v177, v172 op_sel_hi:[0,0,0] cbsz:4 blgp:4// 0000000046B8: D3AC6000 000359B1 D3AD8C70 85C29198
	ds_read_b128 v[8:11], v181                                 // 0000000046C8: D9FE0000 080000B5
	v_mfma_scale_f32_16x16x128_f8f6f4 a[116:119], v[152:155], v[76:79], a[116:119], v177, v172 op_sel_hi:[0,0,0] cbsz:4 blgp:4// 0000000046D0: D3AC7000 000359B1 D3AD8C74 85D29998
	buffer_load_dwordx4 v[144:147], v189, s[16:19], 0 offen offset:1024// 0000000046E0: E05C1400 800490BD
	v_mfma_scale_f32_16x16x128_f8f6f4 a[120:123], v[156:159], v[72:75], a[120:123], v177, v172 op_sel_hi:[0,0,0] cbsz:4 blgp:4// 0000000046E8: D3AC6800 000359B1 D3AD8C78 85E2919C
	ds_read_b128 v[16:19], v181 offset:64                      // 0000000046F8: D9FE0040 100000B5
	v_mfma_scale_f32_16x16x128_f8f6f4 a[124:127], v[156:159], v[76:79], a[124:127], v177, v172 op_sel_hi:[0,0,0] cbsz:4 blgp:4// 000000004700: D3AC3800 000359B1 D3AD8C7C 85F2999C
	v_mfma_scale_f32_16x16x128_f8f6f4 a[112:115], v[160:163], v[80:83], a[112:115], v177, v172 op_sel_hi:[0,0,0] cbsz:4 blgp:4// 000000004710: D3AC6000 180359B1 D3AD8C70 85C2A1A0
	ds_read_b128 v[12:15], v181 offset:512                     // 000000004720: D9FE0200 0C0000B5
	v_mfma_scale_f32_16x16x128_f8f6f4 a[116:119], v[160:163], v[84:87], a[116:119], v177, v172 op_sel_hi:[0,0,0] cbsz:4 blgp:4// 000000004728: D3AC7000 180359B1 D3AD8C74 85D2A9A0
	buffer_load_dwordx4 v[148:151], v190, s[16:19], 0 offen offset:1024// 000000004738: E05C1400 800494BE
	v_mfma_scale_f32_16x16x128_f8f6f4 a[120:123], v[164:167], v[80:83], a[120:123], v177, v172 op_sel_hi:[0,0,0] cbsz:4 blgp:4// 000000004740: D3AC6800 180359B1 D3AD8C78 85E2A1A4
	ds_read_b128 v[20:23], v181 offset:576                     // 000000004750: D9FE0240 140000B5
	v_mfma_scale_f32_16x16x128_f8f6f4 a[124:127], v[164:167], v[84:87], a[124:127], v177, v172 op_sel_hi:[0,0,0] cbsz:4 blgp:4// 000000004758: D3AC7800 180359B1 D3AD8C7C 85F2A9A4
	ds_read_b32 v168, v184                                     // 000000004768: D86C0000 A80000B8
	v_mfma_scale_f32_16x16x128_f8f6f4 a[176:179], v[152:155], v[88:91], a[176:179], v177, v173 op_sel_hi:[0,0,0] cbsz:4 blgp:4// 000000004770: D3AC6000 00035BB1 D3AD8CB0 86C2B198
	ds_read_b128 v[24:27], v181 offset:4224                    // 000000004780: D9FE1080 180000B5
	v_mfma_scale_f32_16x16x128_f8f6f4 a[180:183], v[152:155], v[92:95], a[180:183], v177, v173 op_sel_hi:[0,0,0] cbsz:4 blgp:4// 000000004788: D3AC7000 00035BB1 D3AD8CB4 86D2B998
	buffer_load_dword v176, v195, s[24:27], 0 offen            // 000000004798: E0501000 8006B0C3
	v_mfma_scale_f32_16x16x128_f8f6f4 a[184:187], v[156:159], v[88:91], a[184:187], v177, v173 op_sel_hi:[0,0,0] cbsz:4 blgp:4// 0000000047A0: D3AC6800 00035BB1 D3AD8CB8 86E2B19C
	ds_read_b128 v[32:35], v181 offset:4288                    // 0000000047B0: D9FE10C0 200000B5
	v_mfma_scale_f32_16x16x128_f8f6f4 a[188:191], v[156:159], v[92:95], a[188:191], v177, v173 op_sel_hi:[0,0,0] cbsz:4 blgp:4// 0000000047B8: D3AC7800 00035BB1 D3AD8CBC 86F2B99C
	v_mfma_scale_f32_16x16x128_f8f6f4 a[176:179], v[160:163], v[96:99], a[176:179], v177, v173 op_sel_hi:[0,0,0] cbsz:4 blgp:4// 0000000047C8: D3AC6000 18035BB1 D3AD8CB0 86C2C1A0
	ds_read_b128 v[28:31], v181 offset:4736                    // 0000000047D8: D9FE1280 1C0000B5
	v_mfma_scale_f32_16x16x128_f8f6f4 a[180:183], v[160:163], v[100:103], a[180:183], v177, v173 op_sel_hi:[0,0,0] cbsz:4 blgp:4// 0000000047E0: D3AC7000 18035BB1 D3AD8CB4 86D2C9A0
	v_mfma_scale_f32_16x16x128_f8f6f4 a[184:187], v[164:167], v[96:99], a[184:187], v177, v173 op_sel_hi:[0,0,0] cbsz:4 blgp:4// 0000000047F0: D3AC6800 18035BB1 D3AD8CB8 86E2C1A4
	ds_read_b128 v[36:39], v181 offset:4800                    // 000000004800: D9FE12C0 240000B5
	v_mfma_scale_f32_16x16x128_f8f6f4 a[188:191], v[164:167], v[100:103], a[188:191], v177, v173 op_sel_hi:[0,0,0] cbsz:4 blgp:4// 000000004808: D3AC7800 18035BB1 D3AD8CBC 86F2C9A4
	ds_read_b32 v169, v184 offset:256                          // 000000004818: D86C0100 A90000B8
	s_cbranch_scc0 label_0AF9                                  // 000000004820: BF8403F0
	s_branch label_031B                                        // 000000004824: BF82FC11

0000000000004828 <label_070A>:
	s_waitcnt vmcnt(10) lgkmcnt(5)                             // 000000004828: BF8C057A
	s_barrier                                                  // 00000000482C: BF8A0000
	v_mfma_scale_f32_16x16x128_f8f6f4 a[0:3], v[104:107], v[8:11], a[0:3], v174, v168 op_sel_hi:[0,0,0] cbsz:4 blgp:4// 000000004830: D3AC6000 000351AE D3AD8C00 84021168
	s_add_u32 s63, 0x100, s60                                  // 000000004840: 803F3CFF 00000100
	buffer_load_dwordx4 v[152:155], v191, s[16:19], 0 offen    // 000000004848: E05C1000 800498BF
	v_mfma_scale_f32_16x16x128_f8f6f4 a[4:7], v[104:107], v[12:15], a[4:7], v174, v168 op_sel_hi:[0,0,0] cbsz:4 blgp:4// 000000004850: D3AC7000 000351AE D3AD8C04 84121968
	s_cmp_lt_u32 s63, s61                                      // 000000004860: BF0A3D3F
	ds_read_b128 v[40:43], v181 offset:8448                    // 000000004864: D9FE2100 280000B5
	v_mfma_scale_f32_16x16x128_f8f6f4 a[8:11], v[108:111], v[8:11], a[8:11], v174, v168 op_sel_hi:[0,0,0] cbsz:4 blgp:4// 00000000486C: D3AC6800 000351AE D3AD8C08 8422116C
	s_cselect_b32 s67, s67, 0                                  // 00000000487C: 85438043
	s_cselect_b32 s69, s69, 0                                  // 000000004880: 85458045
	v_mfma_scale_f32_16x16x128_f8f6f4 a[12:15], v[108:111], v[12:15], a[12:15], v174, v168 op_sel_hi:[0,0,0] cbsz:4 blgp:4// 000000004884: D3AC7800 000351AE D3AD8C0C 8432196C
	ds_read_b128 v[48:51], v181 offset:8512                    // 000000004894: D9FE2140 300000B5
	v_mfma_scale_f32_16x16x128_f8f6f4 a[0:3], v[112:115], v[16:19], a[0:3], v174, v168 op_sel_hi:[0,0,0] cbsz:4 blgp:4// 00000000489C: D3AC6000 180351AE D3AD8C00 84022170
	buffer_load_dwordx4 v[156:159], v192, s[16:19], 0 offen    // 0000000048AC: E05C1000 80049CC0
	v_mfma_scale_f32_16x16x128_f8f6f4 a[4:7], v[112:115], v[20:23], a[4:7], v174, v168 op_sel_hi:[0,0,0] cbsz:4 blgp:4// 0000000048B4: D3AC7000 180351AE D3AD8C04 84122970
	ds_read_b128 v[44:47], v181 offset:8960                    // 0000000048C4: D9FE2300 2C0000B5
	v_mfma_scale_f32_16x16x128_f8f6f4 a[8:11], v[116:119], v[16:19], a[8:11], v174, v168 op_sel_hi:[0,0,0] cbsz:4 blgp:4// 0000000048CC: D3AC6800 180351AE D3AD8C08 84222174
	v_mfma_scale_f32_16x16x128_f8f6f4 a[12:15], v[116:119], v[20:23], a[12:15], v174, v168 op_sel_hi:[0,0,0] cbsz:4 blgp:4// 0000000048DC: D3AC7800 180351AE D3AD8C0C 84322974
	ds_read_b128 v[52:55], v181 offset:9024                    // 0000000048EC: D9FE2340 340000B5
	ds_read_b32 v170, v184 offset:512                          // 0000000048F4: D86C0200 AA0000B8
	s_waitcnt lgkmcnt(5)                                       // 0000000048FC: BF8CC57F
	v_mfma_scale_f32_16x16x128_f8f6f4 a[64:67], v[104:107], v[24:27], a[64:67], v174, v169 op_sel_hi:[0,0,0] cbsz:4 blgp:4// 000000004900: D3AC6000 000353AE D3AD8C40 85023168
	buffer_load_dwordx4 v[160:163], v191, s[16:19], 0 offen offset:1024// 000000004910: E05C1400 8004A0BF
	v_mfma_scale_f32_16x16x128_f8f6f4 a[68:71], v[104:107], v[28:31], a[68:71], v174, v169 op_sel_hi:[0,0,0] cbsz:4 blgp:4// 000000004918: D3AC7000 000353AE D3AD8C44 85123968
	v_mfma_scale_f32_16x16x128_f8f6f4 a[72:75], v[108:111], v[24:27], a[72:75], v174, v169 op_sel_hi:[0,0,0] cbsz:4 blgp:4// 000000004928: D3AC6800 000353AE D3AD8C48 8522316C
	v_mfma_scale_f32_16x16x128_f8f6f4 a[76:79], v[108:111], v[28:31], a[76:79], v174, v169 op_sel_hi:[0,0,0] cbsz:4 blgp:4// 000000004938: D3AC7800 000353AE D3AD8C4C 8532396C
	v_mfma_scale_f32_16x16x128_f8f6f4 a[64:67], v[112:115], v[32:35], a[64:67], v174, v169 op_sel_hi:[0,0,0] cbsz:4 blgp:4// 000000004948: D3AC6000 180353AE D3AD8C40 85024170
	buffer_load_dwordx4 v[164:167], v192, s[16:19], 0 offen offset:1024// 000000004958: E05C1400 8004A4C0
	v_mfma_scale_f32_16x16x128_f8f6f4 a[68:71], v[112:115], v[36:39], a[68:71], v174, v169 op_sel_hi:[0,0,0] cbsz:4 blgp:4// 000000004960: D3AC7000 180353AE D3AD8C44 85124970
	v_mfma_scale_f32_16x16x128_f8f6f4 a[72:75], v[116:119], v[32:35], a[72:75], v174, v169 op_sel_hi:[0,0,0] cbsz:4 blgp:4// 000000004970: D3AC6800 180353AE D3AD8C48 85224174
	v_mfma_scale_f32_16x16x128_f8f6f4 a[76:79], v[116:119], v[36:39], a[76:79], v174, v169 op_sel_hi:[0,0,0] cbsz:4 blgp:4// 000000004980: D3AC7800 180353AE D3AD8C4C 85324974
	s_waitcnt lgkmcnt(0)                                       // 000000004990: BF8CC07F
	v_mfma_scale_f32_16x16x128_f8f6f4 a[128:131], v[104:107], v[40:43], a[128:131], v174, v170 op_sel_hi:[0,0,0] cbsz:4 blgp:4// 000000004994: D3AC6000 000355AE D3AD8C80 86025168
	buffer_load_dword v177, v196, s[24:27], 0 offen            // 0000000049A4: E0501000 8006B1C4
	v_mfma_scale_f32_16x16x128_f8f6f4 a[132:135], v[104:107], v[44:47], a[132:135], v174, v170 op_sel_hi:[0,0,0] cbsz:4 blgp:4// 0000000049AC: D3AC7000 000355AE D3AD8C84 86125968
	s_add_u32 s16, s16, s67                                    // 0000000049BC: 80104310
	s_addc_u32 s17, 0, s17                                     // 0000000049C0: 82111180
	v_mfma_scale_f32_16x16x128_f8f6f4 a[136:139], v[108:111], v[40:43], a[136:139], v174, v170 op_sel_hi:[0,0,0] cbsz:4 blgp:4// 0000000049C4: D3AC6800 000355AE D3AD8C88 8622516C
	s_sub_u32 s18, s18, s67                                    // 0000000049D4: 80924312
	s_add_u32 s24, s24, s69                                    // 0000000049D8: 80184518
	v_mfma_scale_f32_16x16x128_f8f6f4 a[140:143], v[108:111], v[44:47], a[140:143], v174, v170 op_sel_hi:[0,0,0] cbsz:4 blgp:4// 0000000049DC: D3AC7800 000355AE D3AD8C8C 8632596C
	s_addc_u32 s25, 0, s25                                     // 0000000049EC: 82191980
	s_sub_u32 s26, s26, s69                                    // 0000000049F0: 809A451A
	v_mfma_scale_f32_16x16x128_f8f6f4 a[128:131], v[112:115], v[48:51], a[128:131], v174, v170 op_sel_hi:[0,0,0] cbsz:4 blgp:4// 0000000049F4: D3AC6000 180355AE D3AD8C80 86026170
	s_add_u32 m0, 0x400, s65                                   // 000000004A04: 807C41FF 00000400
	buffer_load_dword v183, s[20:23], 0 offen lds              // 000000004A0C: E0511000 800500B7
	v_mfma_scale_f32_16x16x128_f8f6f4 a[132:135], v[112:115], v[52:55], a[132:135], v174, v170 op_sel_hi:[0,0,0] cbsz:4 blgp:4// 000000004A14: D3AC7000 180355AE D3AD8C84 86126970
	v_mfma_scale_f32_16x16x128_f8f6f4 a[136:139], v[116:119], v[48:51], a[136:139], v174, v170 op_sel_hi:[0,0,0] cbsz:4 blgp:4// 000000004A24: D3AC6800 180355AE D3AD8C88 86226174
	v_mfma_scale_f32_16x16x128_f8f6f4 a[140:143], v[116:119], v[52:55], a[140:143], v174, v170 op_sel_hi:[0,0,0] cbsz:4 blgp:4// 000000004A34: D3AC7800 180355AE D3AD8C8C 86326974
	s_waitcnt vmcnt(11)                                        // 000000004A44: BF8C0F7B
	v_mfma_scale_f32_16x16x128_f8f6f4 a[16:19], v[120:123], v[8:11], a[16:19], v175, v168 op_sel_hi:[0,0,0] cbsz:4 blgp:4// 000000004A48: D3AC6000 000351AF D3AD8C10 84421178
	s_add_u32 m0, 0x3180, s64                                  // 000000004A58: 807C40FF 00003180
	buffer_load_dwordx4 v178, s[12:15], 0 offen lds            // 000000004A60: E05D1000 800300B2
	v_mfma_scale_f32_16x16x128_f8f6f4 a[20:23], v[120:123], v[12:15], a[20:23], v175, v168 op_sel_hi:[0,0,0] cbsz:4 blgp:4// 000000004A68: D3AC7000 000351AF D3AD8C14 84521978
	v_mfma_scale_f32_16x16x128_f8f6f4 a[24:27], v[124:127], v[8:11], a[24:27], v175, v168 op_sel_hi:[0,0,0] cbsz:4 blgp:4// 000000004A78: D3AC6800 000351AF D3AD8C18 8462117C
	s_add_u32 m0, 0x4200, s64                                  // 000000004A88: 807C40FF 00004200
	buffer_load_dwordx4 v179, s[12:15], 0 offen lds            // 000000004A90: E05D1000 800300B3
	v_mfma_scale_f32_16x16x128_f8f6f4 a[28:31], v[124:127], v[12:15], a[28:31], v175, v168 op_sel_hi:[0,0,0] cbsz:4 blgp:4// 000000004A98: D3AC7800 000351AF D3AD8C1C 8472197C
	v_mfma_scale_f32_16x16x128_f8f6f4 a[16:19], v[128:131], v[16:19], a[16:19], v175, v168 op_sel_hi:[0,0,0] cbsz:4 blgp:4// 000000004AA8: D3AC6000 180351AF D3AD8C10 84422180
	buffer_load_dwordx4 v[104:107], v185, s[16:19], 0 offen    // 000000004AB8: E05C1000 800468B9
	v_mfma_scale_f32_16x16x128_f8f6f4 a[20:23], v[128:131], v[20:23], a[20:23], v175, v168 op_sel_hi:[0,0,0] cbsz:4 blgp:4// 000000004AC0: D3AC7000 180351AF D3AD8C14 84522980
	v_mfma_scale_f32_16x16x128_f8f6f4 a[24:27], v[132:135], v[16:19], a[24:27], v175, v168 op_sel_hi:[0,0,0] cbsz:4 blgp:4// 000000004AD0: D3AC6800 180351AF D3AD8C18 84622184
	v_mfma_scale_f32_16x16x128_f8f6f4 a[28:31], v[132:135], v[20:23], a[28:31], v175, v168 op_sel_hi:[0,0,0] cbsz:4 blgp:4// 000000004AE0: D3AC7800 180351AF D3AD8C1C 84722984
	v_mfma_scale_f32_16x16x128_f8f6f4 a[80:83], v[120:123], v[24:27], a[80:83], v175, v169 op_sel_hi:[0,0,0] cbsz:4 blgp:4// 000000004AF0: D3AC6000 000353AF D3AD8C50 85423178
	buffer_load_dwordx4 v[108:111], v186, s[16:19], 0 offen    // 000000004B00: E05C1000 80046CBA
	v_mfma_scale_f32_16x16x128_f8f6f4 a[84:87], v[120:123], v[28:31], a[84:87], v175, v169 op_sel_hi:[0,0,0] cbsz:4 blgp:4// 000000004B08: D3AC7000 000353AF D3AD8C54 85523978
	v_mfma_scale_f32_16x16x128_f8f6f4 a[88:91], v[124:127], v[24:27], a[88:91], v175, v169 op_sel_hi:[0,0,0] cbsz:4 blgp:4// 000000004B18: D3AC6800 000353AF D3AD8C58 8562317C
	v_mfma_scale_f32_16x16x128_f8f6f4 a[92:95], v[124:127], v[28:31], a[92:95], v175, v169 op_sel_hi:[0,0,0] cbsz:4 blgp:4// 000000004B28: D3AC7800 000353AF D3AD8C5C 8572397C
	v_mfma_scale_f32_16x16x128_f8f6f4 a[80:83], v[128:131], v[32:35], a[80:83], v175, v169 op_sel_hi:[0,0,0] cbsz:4 blgp:4// 000000004B38: D3AC6000 180353AF D3AD8C50 85424180
	buffer_load_dwordx4 v[112:115], v185, s[16:19], 0 offen offset:1024// 000000004B48: E05C1400 800470B9
	v_mfma_scale_f32_16x16x128_f8f6f4 a[84:87], v[128:131], v[36:39], a[84:87], v175, v169 op_sel_hi:[0,0,0] cbsz:4 blgp:4// 000000004B50: D3AC7000 180353AF D3AD8C54 85524980
	v_mfma_scale_f32_16x16x128_f8f6f4 a[88:91], v[132:135], v[32:35], a[88:91], v175, v169 op_sel_hi:[0,0,0] cbsz:4 blgp:4// 000000004B60: D3AC6800 180353AF D3AD8C58 85624184
	v_mfma_scale_f32_16x16x128_f8f6f4 a[92:95], v[132:135], v[36:39], a[92:95], v175, v169 op_sel_hi:[0,0,0] cbsz:4 blgp:4// 000000004B70: D3AC7800 180353AF D3AD8C5C 85724984
	v_mfma_scale_f32_16x16x128_f8f6f4 a[144:147], v[120:123], v[40:43], a[144:147], v175, v170 op_sel_hi:[0,0,0] cbsz:4 blgp:4// 000000004B80: D3AC6000 000355AF D3AD8C90 86425178
	buffer_load_dwordx4 v[116:119], v186, s[16:19], 0 offen offset:1024// 000000004B90: E05C1400 800474BA
	v_mfma_scale_f32_16x16x128_f8f6f4 a[148:151], v[120:123], v[44:47], a[148:151], v175, v170 op_sel_hi:[0,0,0] cbsz:4 blgp:4// 000000004B98: D3AC7000 000355AF D3AD8C94 86525978
	v_mfma_scale_f32_16x16x128_f8f6f4 a[152:155], v[124:127], v[40:43], a[152:155], v175, v170 op_sel_hi:[0,0,0] cbsz:4 blgp:4// 000000004BA8: D3AC6800 000355AF D3AD8C98 8662517C
	v_mfma_scale_f32_16x16x128_f8f6f4 a[156:159], v[124:127], v[44:47], a[156:159], v175, v170 op_sel_hi:[0,0,0] cbsz:4 blgp:4// 000000004BB8: D3AC7800 000355AF D3AD8C9C 8672597C
	v_mfma_scale_f32_16x16x128_f8f6f4 a[144:147], v[128:131], v[48:51], a[144:147], v175, v170 op_sel_hi:[0,0,0] cbsz:4 blgp:4// 000000004BC8: D3AC6000 180355AF D3AD8C90 86426180
	buffer_load_dword v174, v193, s[24:27], 0 offen            // 000000004BD8: E0501000 8006AEC1
	v_mfma_scale_f32_16x16x128_f8f6f4 a[148:151], v[128:131], v[52:55], a[148:151], v175, v170 op_sel_hi:[0,0,0] cbsz:4 blgp:4// 000000004BE0: D3AC7000 180355AF D3AD8C94 86526980
	v_mfma_scale_f32_16x16x128_f8f6f4 a[152:155], v[132:135], v[48:51], a[152:155], v175, v170 op_sel_hi:[0,0,0] cbsz:4 blgp:4// 000000004BF0: D3AC6800 180355AF D3AD8C98 86626184
	v_mfma_scale_f32_16x16x128_f8f6f4 a[156:159], v[132:135], v[52:55], a[156:159], v175, v170 op_sel_hi:[0,0,0] cbsz:4 blgp:4// 000000004C00: D3AC7800 180355AF D3AD8C9C 86726984
	s_waitcnt vmcnt(13)                                        // 000000004C10: BF8C0F7D
	v_mfma_scale_f32_16x16x128_f8f6f4 a[32:35], v[136:139], v[8:11], a[32:35], v176, v168 op_sel_hi:[0,0,0] cbsz:4 blgp:4// 000000004C14: D3AC0000 000351B0 D3AD8C20 84821188
	s_add_u32 m0, 0x5280, s64                                  // 000000004C24: 807C40FF 00005280
	buffer_load_dwordx4 v180, s[12:15], 0 offen lds            // 000000004C2C: E05D1000 800300B4
	v_mfma_scale_f32_16x16x128_f8f6f4 a[36:39], v[136:139], v[12:15], a[36:39], v176, v168 op_sel_hi:[0,0,0] cbsz:4 blgp:4// 000000004C34: D3AC7000 000351B0 D3AD8C24 84921988
	s_add_u32 s62, 0x200, s60                                  // 000000004C44: 803E3CFF 00000200
	s_cmp_lt_u32 s62, s61                                      // 000000004C4C: BF0A3D3E
	v_mfma_scale_f32_16x16x128_f8f6f4 a[40:43], v[140:143], v[8:11], a[40:43], v176, v168 op_sel_hi:[0,0,0] cbsz:4 blgp:4// 000000004C50: D3AC6800 000351B0 D3AD8C28 84A2118C
	s_cselect_b32 s66, s66, 0                                  // 000000004C60: 85428042
	s_cselect_b32 s68, s68, 0                                  // 000000004C64: 85448044
	v_mfma_scale_f32_16x16x128_f8f6f4 a[44:47], v[140:143], v[12:15], a[44:47], v176, v168 op_sel_hi:[0,0,0] cbsz:4 blgp:4// 000000004C68: D3AC7800 000351B0 D3AD8C2C 84B2198C
	s_add_u32 s12, s12, s66                                    // 000000004C78: 800C420C
	s_addc_u32 s13, 0, s13                                     // 000000004C7C: 820D0D80
	v_mfma_scale_f32_16x16x128_f8f6f4 a[32:35], v[144:147], v[16:19], a[32:35], v176, v168 op_sel_hi:[0,0,0] cbsz:4 blgp:4// 000000004C80: D3AC6000 180351B0 D3AD8C20 84822190
	s_sub_u32 s14, s14, s66                                    // 000000004C90: 808E420E
	buffer_load_dwordx4 v[120:123], v187, s[16:19], 0 offen    // 000000004C94: E05C1000 800478BB
	v_mfma_scale_f32_16x16x128_f8f6f4 a[36:39], v[144:147], v[20:23], a[36:39], v176, v168 op_sel_hi:[0,0,0] cbsz:4 blgp:4// 000000004C9C: D3AC7000 180351B0 D3AD8C24 84922990
	s_add_u32 s20, s20, s68                                    // 000000004CAC: 80144414
	s_addc_u32 s21, 0, s21                                     // 000000004CB0: 82151580
	v_mfma_scale_f32_16x16x128_f8f6f4 a[40:43], v[148:151], v[16:19], a[40:43], v176, v168 op_sel_hi:[0,0,0] cbsz:4 blgp:4// 000000004CB4: D3AC6800 180351B0 D3AD8C28 84A22194
	s_sub_u32 s22, s22, s68                                    // 000000004CC4: 80964416
	v_mfma_scale_f32_16x16x128_f8f6f4 a[44:47], v[148:151], v[20:23], a[44:47], v176, v168 op_sel_hi:[0,0,0] cbsz:4 blgp:4// 000000004CC8: D3AC7800 180351B0 D3AD8C2C 84B22994
	v_mfma_scale_f32_16x16x128_f8f6f4 a[96:99], v[136:139], v[24:27], a[96:99], v176, v169 op_sel_hi:[0,0,0] cbsz:4 blgp:4// 000000004CD8: D3AC6000 000353B0 D3AD8C60 85823188
	buffer_load_dwordx4 v[124:127], v188, s[16:19], 0 offen    // 000000004CE8: E05C1000 80047CBC
	v_mfma_scale_f32_16x16x128_f8f6f4 a[100:103], v[136:139], v[28:31], a[100:103], v176, v169 op_sel_hi:[0,0,0] cbsz:4 blgp:4// 000000004CF0: D3AC7000 000353B0 D3AD8C64 85923988
	v_mfma_scale_f32_16x16x128_f8f6f4 a[104:107], v[140:143], v[24:27], a[104:107], v176, v169 op_sel_hi:[0,0,0] cbsz:4 blgp:4// 000000004D00: D3AC6800 000353B0 D3AD8C68 85A2318C
	v_mfma_scale_f32_16x16x128_f8f6f4 a[108:111], v[140:143], v[28:31], a[108:111], v176, v169 op_sel_hi:[0,0,0] cbsz:4 blgp:4// 000000004D10: D3AC7800 000353B0 D3AD8C6C 85B2398C
	v_mfma_scale_f32_16x16x128_f8f6f4 a[96:99], v[144:147], v[32:35], a[96:99], v176, v169 op_sel_hi:[0,0,0] cbsz:4 blgp:4// 000000004D20: D3AC6000 180353B0 D3AD8C60 85824190
	buffer_load_dwordx4 v[128:131], v187, s[16:19], 0 offen offset:1024// 000000004D30: E05C1400 800480BB
	v_mfma_scale_f32_16x16x128_f8f6f4 a[100:103], v[144:147], v[36:39], a[100:103], v176, v169 op_sel_hi:[0,0,0] cbsz:4 blgp:4// 000000004D38: D3AC7000 180353B0 D3AD8C64 85924990
	v_mfma_scale_f32_16x16x128_f8f6f4 a[104:107], v[148:151], v[32:35], a[104:107], v176, v169 op_sel_hi:[0,0,0] cbsz:4 blgp:4// 000000004D48: D3AC6800 180353B0 D3AD8C68 85A24194
	v_mfma_scale_f32_16x16x128_f8f6f4 a[108:111], v[148:151], v[36:39], a[108:111], v176, v169 op_sel_hi:[0,0,0] cbsz:4 blgp:4// 000000004D58: D3AC7800 180353B0 D3AD8C6C 85B24994
	v_mfma_scale_f32_16x16x128_f8f6f4 a[160:163], v[136:139], v[40:43], a[160:163], v176, v170 op_sel_hi:[0,0,0] cbsz:4 blgp:4// 000000004D68: D3AC6000 000355B0 D3AD8CA0 86825188
	buffer_load_dwordx4 v[132:135], v188, s[16:19], 0 offen offset:1024// 000000004D78: E05C1400 800484BC
	v_mfma_scale_f32_16x16x128_f8f6f4 a[164:167], v[136:139], v[44:47], a[164:167], v176, v170 op_sel_hi:[0,0,0] cbsz:4 blgp:4// 000000004D80: D3AC7000 000355B0 D3AD8CA4 86925988
	v_mfma_scale_f32_16x16x128_f8f6f4 a[168:171], v[140:143], v[40:43], a[168:171], v176, v170 op_sel_hi:[0,0,0] cbsz:4 blgp:4// 000000004D90: D3AC6800 000355B0 D3AD8CA8 86A2518C
	v_mfma_scale_f32_16x16x128_f8f6f4 a[172:175], v[140:143], v[44:47], a[172:175], v176, v170 op_sel_hi:[0,0,0] cbsz:4 blgp:4// 000000004DA0: D3AC7800 000355B0 D3AD8CAC 86B2598C
	v_mfma_scale_f32_16x16x128_f8f6f4 a[160:163], v[144:147], v[48:51], a[160:163], v176, v170 op_sel_hi:[0,0,0] cbsz:4 blgp:4// 000000004DB0: D3AC6000 180355B0 D3AD8CA0 86826190
	buffer_load_dword v175, v194, s[24:27], 0 offen            // 000000004DC0: E0501000 8006AFC2
	v_mfma_scale_f32_16x16x128_f8f6f4 a[164:167], v[144:147], v[52:55], a[164:167], v176, v170 op_sel_hi:[0,0,0] cbsz:4 blgp:4// 000000004DC8: D3AC7000 180355B0 D3AD8CA4 86926990
	v_mfma_scale_f32_16x16x128_f8f6f4 a[168:171], v[148:151], v[48:51], a[168:171], v176, v170 op_sel_hi:[0,0,0] cbsz:4 blgp:4// 000000004DD8: D3AC6800 180355B0 D3AD8CA8 86A26194
	v_mfma_scale_f32_16x16x128_f8f6f4 a[172:175], v[148:151], v[52:55], a[172:175], v176, v170 op_sel_hi:[0,0,0] cbsz:4 blgp:4// 000000004DE8: D3AC7800 180355B0 D3AD8CAC 86B26994
	s_waitcnt vmcnt(14)                                        // 000000004DF8: BF8C0F7E
	v_mfma_scale_f32_16x16x128_f8f6f4 a[48:51], v[152:155], v[8:11], a[48:51], v177, v168 op_sel_hi:[0,0,0] cbsz:4 blgp:4// 000000004DFC: D3AC6000 000351B1 D3AD8C30 84C21198
	s_addk_i32 s60, 0x100                                      // 000000004E0C: B73C0100
	buffer_load_dwordx4 v[136:139], v189, s[16:19], 0 offen    // 000000004E10: E05C1000 800488BD
	v_mfma_scale_f32_16x16x128_f8f6f4 a[52:55], v[152:155], v[12:15], a[52:55], v177, v168 op_sel_hi:[0,0,0] cbsz:4 blgp:4// 000000004E18: D3AC7000 000351B1 D3AD8C34 84D21998
	s_cmp_lt_i32 s60, s61                                      // 000000004E28: BF043D3C
	v_mfma_scale_f32_16x16x128_f8f6f4 a[56:59], v[156:159], v[8:11], a[56:59], v177, v168 op_sel_hi:[0,0,0] cbsz:4 blgp:4// 000000004E2C: D3AC6800 000351B1 D3AD8C38 84E2119C
	v_mfma_scale_f32_16x16x128_f8f6f4 a[60:63], v[156:159], v[12:15], a[60:63], v177, v168 op_sel_hi:[0,0,0] cbsz:4 blgp:4// 000000004E3C: D3AC7800 000351B1 D3AD8C3C 84F2199C
	v_mfma_scale_f32_16x16x128_f8f6f4 a[48:51], v[160:163], v[16:19], a[48:51], v177, v168 op_sel_hi:[0,0,0] cbsz:4 blgp:4// 000000004E4C: D3AC6000 180351B1 D3AD8C30 84C221A0
	buffer_load_dwordx4 v[140:143], v190, s[16:19], 0 offen    // 000000004E5C: E05C1000 80048CBE
	v_mfma_scale_f32_16x16x128_f8f6f4 a[52:55], v[160:163], v[20:23], a[52:55], v177, v168 op_sel_hi:[0,0,0] cbsz:4 blgp:4// 000000004E64: D3AC7000 180351B1 D3AD8C34 84D229A0
	v_mfma_scale_f32_16x16x128_f8f6f4 a[56:59], v[164:167], v[16:19], a[56:59], v177, v168 op_sel_hi:[0,0,0] cbsz:4 blgp:4// 000000004E74: D3AC6800 180351B1 D3AD8C38 84E221A4
	v_mfma_scale_f32_16x16x128_f8f6f4 a[60:63], v[164:167], v[20:23], a[60:63], v177, v168 op_sel_hi:[0,0,0] cbsz:4 blgp:4// 000000004E84: D3AC7800 180351B1 D3AD8C3C 84F229A4
	s_waitcnt vmcnt(13)                                        // 000000004E94: BF8C0F7D
	s_barrier                                                  // 000000004E98: BF8A0000
	v_mfma_scale_f32_16x16x128_f8f6f4 a[112:115], v[152:155], v[24:27], a[112:115], v177, v169 op_sel_hi:[0,0,0] cbsz:4 blgp:4// 000000004E9C: D3AC6000 000353B1 D3AD8C70 85C23198
	buffer_load_dwordx4 v[144:147], v189, s[16:19], 0 offen offset:1024// 000000004EAC: E05C1400 800490BD
	v_mfma_scale_f32_16x16x128_f8f6f4 a[116:119], v[152:155], v[28:31], a[116:119], v177, v169 op_sel_hi:[0,0,0] cbsz:4 blgp:4// 000000004EB4: D3AC7000 000353B1 D3AD8C74 85D23998
	ds_read_b128 v[56:59], v182                                // 000000004EC4: D9FE0000 380000B6
	v_mfma_scale_f32_16x16x128_f8f6f4 a[120:123], v[156:159], v[24:27], a[120:123], v177, v169 op_sel_hi:[0,0,0] cbsz:4 blgp:4// 000000004ECC: D3AC6800 000353B1 D3AD8C78 85E2319C
	v_mfma_scale_f32_16x16x128_f8f6f4 a[124:127], v[156:159], v[28:31], a[124:127], v177, v169 op_sel_hi:[0,0,0] cbsz:4 blgp:4// 000000004EDC: D3AC7800 000353B1 D3AD8C7C 85F2399C
	ds_read_b128 v[64:67], v182 offset:64                      // 000000004EEC: D9FE0040 400000B6
	v_mfma_scale_f32_16x16x128_f8f6f4 a[112:115], v[160:163], v[32:35], a[112:115], v177, v169 op_sel_hi:[0,0,0] cbsz:4 blgp:4// 000000004EF4: D3AC6000 180353B1 D3AD8C70 85C241A0
	buffer_load_dwordx4 v[148:151], v190, s[16:19], 0 offen offset:1024// 000000004F04: E05C1400 800494BE
	v_mfma_scale_f32_16x16x128_f8f6f4 a[116:119], v[160:163], v[36:39], a[116:119], v177, v169 op_sel_hi:[0,0,0] cbsz:4 blgp:4// 000000004F0C: D3AC7000 180353B1 D3AD8C74 85D249A0
	ds_read_b128 v[60:63], v182 offset:512                     // 000000004F1C: D9FE0200 3C0000B6
	v_mfma_scale_f32_16x16x128_f8f6f4 a[120:123], v[164:167], v[32:35], a[120:123], v177, v169 op_sel_hi:[0,0,0] cbsz:4 blgp:4// 000000004F24: D3AC6800 180353B1 D3AD8C78 85E241A4
	v_mfma_scale_f32_16x16x128_f8f6f4 a[124:127], v[164:167], v[36:39], a[124:127], v177, v169 op_sel_hi:[0,0,0] cbsz:4 blgp:4// 000000004F34: D3AC7800 180353B1 D3AD8C7C 85F249A4
	ds_read_b128 v[68:71], v182 offset:576                     // 000000004F44: D9FE0240 440000B6
	ds_read_b32 v171, v184 offset:1024                         // 000000004F4C: D86C0400 AB0000B8
	v_mfma_scale_f32_16x16x128_f8f6f4 a[176:179], v[152:155], v[40:43], a[176:179], v177, v170 op_sel_hi:[0,0,0] cbsz:4 blgp:4// 000000004F54: D3AC6000 000355B1 D3AD8CB0 86C25198
	buffer_load_dword v176, v195, s[24:27], 0 offen            // 000000004F64: E0501000 8006B0C3
	v_mfma_scale_f32_16x16x128_f8f6f4 a[180:183], v[152:155], v[44:47], a[180:183], v177, v170 op_sel_hi:[0,0,0] cbsz:4 blgp:4// 000000004F6C: D3AC7000 000355B1 D3AD8CB4 86D25998
	ds_read_b128 v[72:75], v182 offset:4224                    // 000000004F7C: D9FE1080 480000B6
	v_mfma_scale_f32_16x16x128_f8f6f4 a[184:187], v[156:159], v[40:43], a[184:187], v177, v170 op_sel_hi:[0,0,0] cbsz:4 blgp:4// 000000004F84: D3AC6800 000355B1 D3AD8CB8 86E2519C
	v_mfma_scale_f32_16x16x128_f8f6f4 a[188:191], v[156:159], v[44:47], a[188:191], v177, v170 op_sel_hi:[0,0,0] cbsz:4 blgp:4// 000000004F94: D3AC7800 000355B1 D3AD8CBC 86F2599C
	ds_read_b128 v[80:83], v182 offset:4288                    // 000000004FA4: D9FE10C0 500000B6
	v_mfma_scale_f32_16x16x128_f8f6f4 a[176:179], v[160:163], v[48:51], a[176:179], v177, v170 op_sel_hi:[0,0,0] cbsz:4 blgp:4// 000000004FAC: D3AC6000 180355B1 D3AD8CB0 86C261A0
	v_mfma_scale_f32_16x16x128_f8f6f4 a[180:183], v[160:163], v[52:55], a[180:183], v177, v170 op_sel_hi:[0,0,0] cbsz:4 blgp:4// 000000004FBC: D3AC7000 180355B1 D3AD8CB4 86D269A0
	ds_read_b128 v[76:79], v182 offset:4736                    // 000000004FCC: D9FE1280 4C0000B6
	v_mfma_scale_f32_16x16x128_f8f6f4 a[184:187], v[164:167], v[48:51], a[184:187], v177, v170 op_sel_hi:[0,0,0] cbsz:4 blgp:4// 000000004FD4: D3AC6800 180355B1 D3AD8CB8 86E261A4
	v_mfma_scale_f32_16x16x128_f8f6f4 a[188:191], v[164:167], v[52:55], a[188:191], v177, v170 op_sel_hi:[0,0,0] cbsz:4 blgp:4// 000000004FE4: D3AC7800 180355B1 D3AD8CBC 86F269A4
	ds_read_b128 v[84:87], v182 offset:4800                    // 000000004FF4: D9FE12C0 540000B6
	ds_read_b32 v172, v184 offset:1280                         // 000000004FFC: D86C0500 AC0000B8
	s_cbranch_scc0 label_0AF9                                  // 000000005004: BF8401F7
	s_waitcnt vmcnt(10) lgkmcnt(5)                             // 000000005008: BF8C057A
	s_barrier                                                  // 00000000500C: BF8A0000
	v_mfma_scale_f32_16x16x128_f8f6f4 a[0:3], v[104:107], v[56:59], a[0:3], v174, v171 op_sel_hi:[0,0,0] cbsz:4 blgp:4// 000000005010: D3AC6000 000357AE D3AD8C00 84027168
	s_add_u32 s63, 0x100, s60                                  // 000000005020: 803F3CFF 00000100
	buffer_load_dwordx4 v[152:155], v191, s[16:19], 0 offen    // 000000005028: E05C1000 800498BF
	v_mfma_scale_f32_16x16x128_f8f6f4 a[4:7], v[104:107], v[60:63], a[4:7], v174, v171 op_sel_hi:[0,0,0] cbsz:4 blgp:4// 000000005030: D3AC7000 000357AE D3AD8C04 84127968
	s_cmp_lt_u32 s63, s61                                      // 000000005040: BF0A3D3F
	ds_read_b128 v[88:91], v182 offset:8448                    // 000000005044: D9FE2100 580000B6
	v_mfma_scale_f32_16x16x128_f8f6f4 a[8:11], v[108:111], v[56:59], a[8:11], v174, v171 op_sel_hi:[0,0,0] cbsz:4 blgp:4// 00000000504C: D3AC6800 000357AE D3AD8C08 8422716C
	s_cselect_b32 s67, s67, 0                                  // 00000000505C: 85438043
	s_cselect_b32 s69, s69, 0                                  // 000000005060: 85458045
	v_mfma_scale_f32_16x16x128_f8f6f4 a[12:15], v[108:111], v[60:63], a[12:15], v174, v171 op_sel_hi:[0,0,0] cbsz:4 blgp:4// 000000005064: D3AC7800 000357AE D3AD8C0C 8432796C
	ds_read_b128 v[96:99], v182 offset:8512                    // 000000005074: D9FE2140 600000B6
	v_mfma_scale_f32_16x16x128_f8f6f4 a[0:3], v[112:115], v[64:67], a[0:3], v174, v171 op_sel_hi:[0,0,0] cbsz:4 blgp:4// 00000000507C: D3AC6000 180357AE D3AD8C00 84028170
	buffer_load_dwordx4 v[156:159], v192, s[16:19], 0 offen    // 00000000508C: E05C1000 80049CC0
	v_mfma_scale_f32_16x16x128_f8f6f4 a[4:7], v[112:115], v[68:71], a[4:7], v174, v171 op_sel_hi:[0,0,0] cbsz:4 blgp:4// 000000005094: D3AC7000 180357AE D3AD8C04 84128970
	ds_read_b128 v[92:95], v182 offset:8960                    // 0000000050A4: D9FE2300 5C0000B6
	v_mfma_scale_f32_16x16x128_f8f6f4 a[8:11], v[116:119], v[64:67], a[8:11], v174, v171 op_sel_hi:[0,0,0] cbsz:4 blgp:4// 0000000050AC: D3AC6800 180357AE D3AD8C08 84228174
	v_mfma_scale_f32_16x16x128_f8f6f4 a[12:15], v[116:119], v[68:71], a[12:15], v174, v171 op_sel_hi:[0,0,0] cbsz:4 blgp:4// 0000000050BC: D3AC7800 180357AE D3AD8C0C 84328974
	ds_read_b128 v[100:103], v182 offset:9024                  // 0000000050CC: D9FE2340 640000B6
	ds_read_b32 v173, v184 offset:1536                         // 0000000050D4: D86C0600 AD0000B8
	s_waitcnt lgkmcnt(5)                                       // 0000000050DC: BF8CC57F
	v_mfma_scale_f32_16x16x128_f8f6f4 a[64:67], v[104:107], v[72:75], a[64:67], v174, v172 op_sel_hi:[0,0,0] cbsz:4 blgp:4// 0000000050E0: D3AC6000 000359AE D3AD8C40 85029168
	buffer_load_dwordx4 v[160:163], v191, s[16:19], 0 offen offset:1024// 0000000050F0: E05C1400 8004A0BF
	v_mfma_scale_f32_16x16x128_f8f6f4 a[68:71], v[104:107], v[76:79], a[68:71], v174, v172 op_sel_hi:[0,0,0] cbsz:4 blgp:4// 0000000050F8: D3AC7000 000359AE D3AD8C44 85129968
	v_mfma_scale_f32_16x16x128_f8f6f4 a[72:75], v[108:111], v[72:75], a[72:75], v174, v172 op_sel_hi:[0,0,0] cbsz:4 blgp:4// 000000005108: D3AC6800 000359AE D3AD8C48 8522916C
	v_mfma_scale_f32_16x16x128_f8f6f4 a[76:79], v[108:111], v[76:79], a[76:79], v174, v172 op_sel_hi:[0,0,0] cbsz:4 blgp:4// 000000005118: D3AC7800 000359AE D3AD8C4C 8532996C
	v_mfma_scale_f32_16x16x128_f8f6f4 a[64:67], v[112:115], v[80:83], a[64:67], v174, v172 op_sel_hi:[0,0,0] cbsz:4 blgp:4// 000000005128: D3AC6000 180359AE D3AD8C40 8502A170
	buffer_load_dwordx4 v[164:167], v192, s[16:19], 0 offen offset:1024// 000000005138: E05C1400 8004A4C0
	v_mfma_scale_f32_16x16x128_f8f6f4 a[68:71], v[112:115], v[84:87], a[68:71], v174, v172 op_sel_hi:[0,0,0] cbsz:4 blgp:4// 000000005140: D3AC7000 180359AE D3AD8C44 8512A970
	v_mfma_scale_f32_16x16x128_f8f6f4 a[72:75], v[116:119], v[80:83], a[72:75], v174, v172 op_sel_hi:[0,0,0] cbsz:4 blgp:4// 000000005150: D3AC6800 180359AE D3AD8C48 8522A174
	v_mfma_scale_f32_16x16x128_f8f6f4 a[76:79], v[116:119], v[84:87], a[76:79], v174, v172 op_sel_hi:[0,0,0] cbsz:4 blgp:4// 000000005160: D3AC7800 180359AE D3AD8C4C 8532A974
	s_waitcnt lgkmcnt(0)                                       // 000000005170: BF8CC07F
	v_mfma_scale_f32_16x16x128_f8f6f4 a[128:131], v[104:107], v[88:91], a[128:131], v174, v173 op_sel_hi:[0,0,0] cbsz:4 blgp:4// 000000005174: D3AC6000 00035BAE D3AD8C80 8602B168
	buffer_load_dword v177, v196, s[24:27], 0 offen            // 000000005184: E0501000 8006B1C4
	v_mfma_scale_f32_16x16x128_f8f6f4 a[132:135], v[104:107], v[92:95], a[132:135], v174, v173 op_sel_hi:[0,0,0] cbsz:4 blgp:4// 00000000518C: D3AC7000 00035BAE D3AD8C84 8612B968
	s_add_u32 s16, s16, s67                                    // 00000000519C: 80104310
	s_addc_u32 s17, 0, s17                                     // 0000000051A0: 82111180
	v_mfma_scale_f32_16x16x128_f8f6f4 a[136:139], v[108:111], v[88:91], a[136:139], v174, v173 op_sel_hi:[0,0,0] cbsz:4 blgp:4// 0000000051A4: D3AC6800 00035BAE D3AD8C88 8622B16C
	s_sub_u32 s18, s18, s67                                    // 0000000051B4: 80924312
	s_add_u32 s24, s24, s69                                    // 0000000051B8: 80184518
	v_mfma_scale_f32_16x16x128_f8f6f4 a[140:143], v[108:111], v[92:95], a[140:143], v174, v173 op_sel_hi:[0,0,0] cbsz:4 blgp:4// 0000000051BC: D3AC7800 00035BAE D3AD8C8C 8632B96C
	s_addc_u32 s25, 0, s25                                     // 0000000051CC: 82191980
	s_sub_u32 s26, s26, s69                                    // 0000000051D0: 809A451A
	v_mfma_scale_f32_16x16x128_f8f6f4 a[128:131], v[112:115], v[96:99], a[128:131], v174, v173 op_sel_hi:[0,0,0] cbsz:4 blgp:4// 0000000051D4: D3AC6000 18035BAE D3AD8C80 8602C170
	s_add_u32 m0, 0, s65                                       // 0000000051E4: 807C4180
	buffer_load_dword v183, s[20:23], 0 offen lds              // 0000000051E8: E0511000 800500B7
	v_mfma_scale_f32_16x16x128_f8f6f4 a[132:135], v[112:115], v[100:103], a[132:135], v174, v173 op_sel_hi:[0,0,0] cbsz:4 blgp:4// 0000000051F0: D3AC7000 18035BAE D3AD8C84 8612C970
	v_mfma_scale_f32_16x16x128_f8f6f4 a[136:139], v[116:119], v[96:99], a[136:139], v174, v173 op_sel_hi:[0,0,0] cbsz:4 blgp:4// 000000005200: D3AC6800 18035BAE D3AD8C88 8622C174
	v_mfma_scale_f32_16x16x128_f8f6f4 a[140:143], v[116:119], v[100:103], a[140:143], v174, v173 op_sel_hi:[0,0,0] cbsz:4 blgp:4// 000000005210: D3AC7800 18035BAE D3AD8C8C 8632C974
	s_waitcnt vmcnt(11)                                        // 000000005220: BF8C0F7B
	v_mfma_scale_f32_16x16x128_f8f6f4 a[16:19], v[120:123], v[56:59], a[16:19], v175, v171 op_sel_hi:[0,0,0] cbsz:4 blgp:4// 000000005224: D3AC6000 000357AF D3AD8C10 84427178
	s_add_u32 m0, 0, s64                                       // 000000005234: 807C4080
	buffer_load_dwordx4 v178, s[12:15], 0 offen lds            // 000000005238: E05D1000 800300B2
	v_mfma_scale_f32_16x16x128_f8f6f4 a[20:23], v[120:123], v[60:63], a[20:23], v175, v171 op_sel_hi:[0,0,0] cbsz:4 blgp:4// 000000005240: D3AC7000 000357AF D3AD8C14 84527978
	v_mfma_scale_f32_16x16x128_f8f6f4 a[24:27], v[124:127], v[56:59], a[24:27], v175, v171 op_sel_hi:[0,0,0] cbsz:4 blgp:4// 000000005250: D3AC6800 000357AF D3AD8C18 8462717C
	s_add_u32 m0, 0x1080, s64                                  // 000000005260: 807C40FF 00001080
	buffer_load_dwordx4 v179, s[12:15], 0 offen lds            // 000000005268: E05D1000 800300B3
	v_mfma_scale_f32_16x16x128_f8f6f4 a[28:31], v[124:127], v[60:63], a[28:31], v175, v171 op_sel_hi:[0,0,0] cbsz:4 blgp:4// 000000005270: D3AC7800 000357AF D3AD8C1C 8472797C
	v_mfma_scale_f32_16x16x128_f8f6f4 a[16:19], v[128:131], v[64:67], a[16:19], v175, v171 op_sel_hi:[0,0,0] cbsz:4 blgp:4// 000000005280: D3AC6000 180357AF D3AD8C10 84428180
	buffer_load_dwordx4 v[104:107], v185, s[16:19], 0 offen    // 000000005290: E05C1000 800468B9
	v_mfma_scale_f32_16x16x128_f8f6f4 a[20:23], v[128:131], v[68:71], a[20:23], v175, v171 op_sel_hi:[0,0,0] cbsz:4 blgp:4// 000000005298: D3AC7000 180357AF D3AD8C14 84528980
	v_mfma_scale_f32_16x16x128_f8f6f4 a[24:27], v[132:135], v[64:67], a[24:27], v175, v171 op_sel_hi:[0,0,0] cbsz:4 blgp:4// 0000000052A8: D3AC6800 180357AF D3AD8C18 84628184
	v_mfma_scale_f32_16x16x128_f8f6f4 a[28:31], v[132:135], v[68:71], a[28:31], v175, v171 op_sel_hi:[0,0,0] cbsz:4 blgp:4// 0000000052B8: D3AC7800 180357AF D3AD8C1C 84728984
	v_mfma_scale_f32_16x16x128_f8f6f4 a[80:83], v[120:123], v[72:75], a[80:83], v175, v172 op_sel_hi:[0,0,0] cbsz:4 blgp:4// 0000000052C8: D3AC6000 000359AF D3AD8C50 85429178
	buffer_load_dwordx4 v[108:111], v186, s[16:19], 0 offen    // 0000000052D8: E05C1000 80046CBA
	v_mfma_scale_f32_16x16x128_f8f6f4 a[84:87], v[120:123], v[76:79], a[84:87], v175, v172 op_sel_hi:[0,0,0] cbsz:4 blgp:4// 0000000052E0: D3AC7000 000359AF D3AD8C54 85529978
	v_mfma_scale_f32_16x16x128_f8f6f4 a[88:91], v[124:127], v[72:75], a[88:91], v175, v172 op_sel_hi:[0,0,0] cbsz:4 blgp:4// 0000000052F0: D3AC6800 000359AF D3AD8C58 8562917C
	v_mfma_scale_f32_16x16x128_f8f6f4 a[92:95], v[124:127], v[76:79], a[92:95], v175, v172 op_sel_hi:[0,0,0] cbsz:4 blgp:4// 000000005300: D3AC7800 000359AF D3AD8C5C 8572997C
	v_mfma_scale_f32_16x16x128_f8f6f4 a[80:83], v[128:131], v[80:83], a[80:83], v175, v172 op_sel_hi:[0,0,0] cbsz:4 blgp:4// 000000005310: D3AC6000 180359AF D3AD8C50 8542A180
	buffer_load_dwordx4 v[112:115], v185, s[16:19], 0 offen offset:1024// 000000005320: E05C1400 800470B9
	v_mfma_scale_f32_16x16x128_f8f6f4 a[84:87], v[128:131], v[84:87], a[84:87], v175, v172 op_sel_hi:[0,0,0] cbsz:4 blgp:4// 000000005328: D3AC7000 180359AF D3AD8C54 8552A980
	v_mfma_scale_f32_16x16x128_f8f6f4 a[88:91], v[132:135], v[80:83], a[88:91], v175, v172 op_sel_hi:[0,0,0] cbsz:4 blgp:4// 000000005338: D3AC6800 180359AF D3AD8C58 8562A184
	v_mfma_scale_f32_16x16x128_f8f6f4 a[92:95], v[132:135], v[84:87], a[92:95], v175, v172 op_sel_hi:[0,0,0] cbsz:4 blgp:4// 000000005348: D3AC7800 180359AF D3AD8C5C 8572A984
	v_mfma_scale_f32_16x16x128_f8f6f4 a[144:147], v[120:123], v[88:91], a[144:147], v175, v173 op_sel_hi:[0,0,0] cbsz:4 blgp:4// 000000005358: D3AC6000 00035BAF D3AD8C90 8642B178
	buffer_load_dwordx4 v[116:119], v186, s[16:19], 0 offen offset:1024// 000000005368: E05C1400 800474BA
	v_mfma_scale_f32_16x16x128_f8f6f4 a[148:151], v[120:123], v[92:95], a[148:151], v175, v173 op_sel_hi:[0,0,0] cbsz:4 blgp:4// 000000005370: D3AC7000 00035BAF D3AD8C94 8652B978
	v_mfma_scale_f32_16x16x128_f8f6f4 a[152:155], v[124:127], v[88:91], a[152:155], v175, v173 op_sel_hi:[0,0,0] cbsz:4 blgp:4// 000000005380: D3AC6800 00035BAF D3AD8C98 8662B17C
	v_mfma_scale_f32_16x16x128_f8f6f4 a[156:159], v[124:127], v[92:95], a[156:159], v175, v173 op_sel_hi:[0,0,0] cbsz:4 blgp:4// 000000005390: D3AC7800 00035BAF D3AD8C9C 8672B97C
	v_mfma_scale_f32_16x16x128_f8f6f4 a[144:147], v[128:131], v[96:99], a[144:147], v175, v173 op_sel_hi:[0,0,0] cbsz:4 blgp:4// 0000000053A0: D3AC6000 18035BAF D3AD8C90 8642C180
	buffer_load_dword v174, v193, s[24:27], 0 offen            // 0000000053B0: E0501000 8006AEC1
	v_mfma_scale_f32_16x16x128_f8f6f4 a[148:151], v[128:131], v[100:103], a[148:151], v175, v173 op_sel_hi:[0,0,0] cbsz:4 blgp:4// 0000000053B8: D3AC7000 18035BAF D3AD8C94 8652C980
	v_mfma_scale_f32_16x16x128_f8f6f4 a[152:155], v[132:135], v[96:99], a[152:155], v175, v173 op_sel_hi:[0,0,0] cbsz:4 blgp:4// 0000000053C8: D3AC6800 18035BAF D3AD8C98 8662C184
	v_mfma_scale_f32_16x16x128_f8f6f4 a[156:159], v[132:135], v[100:103], a[156:159], v175, v173 op_sel_hi:[0,0,0] cbsz:4 blgp:4// 0000000053D8: D3AC7800 18035BAF D3AD8C9C 8672C984
	s_waitcnt vmcnt(13)                                        // 0000000053E8: BF8C0F7D
	v_mfma_scale_f32_16x16x128_f8f6f4 a[32:35], v[136:139], v[56:59], a[32:35], v176, v171 op_sel_hi:[0,0,0] cbsz:4 blgp:4// 0000000053EC: D3AC6000 000357B0 D3AD8C20 84827188
	s_add_u32 m0, 0x2100, s64                                  // 0000000053FC: 807C40FF 00002100
	buffer_load_dwordx4 v180, s[12:15], 0 offen lds            // 000000005404: E05D1000 800300B4
	v_mfma_scale_f32_16x16x128_f8f6f4 a[36:39], v[136:139], v[60:63], a[36:39], v176, v171 op_sel_hi:[0,0,0] cbsz:4 blgp:4// 00000000540C: D3AC7000 000357B0 D3AD8C24 84927988
	s_add_u32 s62, 0x200, s60                                  // 00000000541C: 803E3CFF 00000200
	s_cmp_lt_u32 s62, s61                                      // 000000005424: BF0A3D3E
	v_mfma_scale_f32_16x16x128_f8f6f4 a[40:43], v[140:143], v[56:59], a[40:43], v176, v171 op_sel_hi:[0,0,0] cbsz:4 blgp:4// 000000005428: D3AC6800 000357B0 D3AD8C28 84A2718C
	s_cselect_b32 s66, s66, 0                                  // 000000005438: 85428042
	s_cselect_b32 s68, s68, 0                                  // 00000000543C: 85448044
	v_mfma_scale_f32_16x16x128_f8f6f4 a[44:47], v[140:143], v[60:63], a[44:47], v176, v171 op_sel_hi:[0,0,0] cbsz:4 blgp:4// 000000005440: D3AC7800 000357B0 D3AD8C2C 84B2798C
	s_add_u32 s12, s12, s66                                    // 000000005450: 800C420C
	s_addc_u32 s13, 0, s13                                     // 000000005454: 820D0D80
	v_mfma_scale_f32_16x16x128_f8f6f4 a[32:35], v[144:147], v[64:67], a[32:35], v176, v171 op_sel_hi:[0,0,0] cbsz:4 blgp:4// 000000005458: D3AC6000 180357B0 D3AD8C20 84828190
	s_sub_u32 s14, s14, s66                                    // 000000005468: 808E420E
	buffer_load_dwordx4 v[120:123], v187, s[16:19], 0 offen    // 00000000546C: E05C1000 800478BB
	v_mfma_scale_f32_16x16x128_f8f6f4 a[36:39], v[144:147], v[68:71], a[36:39], v176, v171 op_sel_hi:[0,0,0] cbsz:4 blgp:4// 000000005474: D3AC7000 180357B0 D3AD8C24 84928990
	s_add_u32 s20, s20, s68                                    // 000000005484: 80144414
	s_addc_u32 s21, 0, s21                                     // 000000005488: 82151580
	v_mfma_scale_f32_16x16x128_f8f6f4 a[40:43], v[148:151], v[64:67], a[40:43], v176, v171 op_sel_hi:[0,0,0] cbsz:4 blgp:4// 00000000548C: D3AC6800 180357B0 D3AD8C28 84A28194
	s_sub_u32 s22, s22, s68                                    // 00000000549C: 80964416
	v_mfma_scale_f32_16x16x128_f8f6f4 a[44:47], v[148:151], v[68:71], a[44:47], v176, v171 op_sel_hi:[0,0,0] cbsz:4 blgp:4// 0000000054A0: D3AC7800 180357B0 D3AD8C2C 84B28994
	v_mfma_scale_f32_16x16x128_f8f6f4 a[96:99], v[136:139], v[72:75], a[96:99], v176, v172 op_sel_hi:[0,0,0] cbsz:4 blgp:4// 0000000054B0: D3AC6000 000359B0 D3AD8C60 85829188
	buffer_load_dwordx4 v[124:127], v188, s[16:19], 0 offen    // 0000000054C0: E05C1000 80047CBC
	v_mfma_scale_f32_16x16x128_f8f6f4 a[100:103], v[136:139], v[76:79], a[100:103], v176, v172 op_sel_hi:[0,0,0] cbsz:4 blgp:4// 0000000054C8: D3AC7000 000359B0 D3AD8C64 85929988
	v_mfma_scale_f32_16x16x128_f8f6f4 a[104:107], v[140:143], v[72:75], a[104:107], v176, v172 op_sel_hi:[0,0,0] cbsz:4 blgp:4// 0000000054D8: D3AC6800 000359B0 D3AD8C68 85A2918C
	v_mfma_scale_f32_16x16x128_f8f6f4 a[108:111], v[140:143], v[76:79], a[108:111], v176, v172 op_sel_hi:[0,0,0] cbsz:4 blgp:4// 0000000054E8: D3AC7800 000359B0 D3AD8C6C 85B2998C
	v_mfma_scale_f32_16x16x128_f8f6f4 a[96:99], v[144:147], v[80:83], a[96:99], v176, v172 op_sel_hi:[0,0,0] cbsz:4 blgp:4// 0000000054F8: D3AC6000 180359B0 D3AD8C60 8582A190
	buffer_load_dwordx4 v[128:131], v187, s[16:19], 0 offen offset:1024// 000000005508: E05C1400 800480BB
	v_mfma_scale_f32_16x16x128_f8f6f4 a[100:103], v[144:147], v[84:87], a[100:103], v176, v172 op_sel_hi:[0,0,0] cbsz:4 blgp:4// 000000005510: D3AC7000 180359B0 D3AD8C64 8592A990
	v_mfma_scale_f32_16x16x128_f8f6f4 a[104:107], v[148:151], v[80:83], a[104:107], v176, v172 op_sel_hi:[0,0,0] cbsz:4 blgp:4// 000000005520: D3AC6800 180359B0 D3AD8C68 85A2A194
	v_mfma_scale_f32_16x16x128_f8f6f4 a[108:111], v[148:151], v[84:87], a[108:111], v176, v172 op_sel_hi:[0,0,0] cbsz:4 blgp:4// 000000005530: D3AC7800 180359B0 D3AD8C6C 85B2A994
	v_mfma_scale_f32_16x16x128_f8f6f4 a[160:163], v[136:139], v[88:91], a[160:163], v176, v173 op_sel_hi:[0,0,0] cbsz:4 blgp:4// 000000005540: D3AC6000 00035BB0 D3AD8CA0 8682B188
	buffer_load_dwordx4 v[132:135], v188, s[16:19], 0 offen offset:1024// 000000005550: E05C1400 800484BC
	v_mfma_scale_f32_16x16x128_f8f6f4 a[164:167], v[136:139], v[92:95], a[164:167], v176, v173 op_sel_hi:[0,0,0] cbsz:4 blgp:4// 000000005558: D3AC7000 00035BB0 D3AD8CA4 8692B988
	v_mfma_scale_f32_16x16x128_f8f6f4 a[168:171], v[140:143], v[88:91], a[168:171], v176, v173 op_sel_hi:[0,0,0] cbsz:4 blgp:4// 000000005568: D3AC6800 00035BB0 D3AD8CA8 86A2B18C
	v_mfma_scale_f32_16x16x128_f8f6f4 a[172:175], v[140:143], v[92:95], a[172:175], v176, v173 op_sel_hi:[0,0,0] cbsz:4 blgp:4// 000000005578: D3AC7800 00035BB0 D3AD8CAC 86B2B98C
	v_mfma_scale_f32_16x16x128_f8f6f4 a[160:163], v[144:147], v[96:99], a[160:163], v176, v173 op_sel_hi:[0,0,0] cbsz:4 blgp:4// 000000005588: D3AC6000 18035BB0 D3AD8CA0 8682C190
	buffer_load_dword v175, v194, s[24:27], 0 offen            // 000000005598: E0501000 8006AFC2
	v_mfma_scale_f32_16x16x128_f8f6f4 a[164:167], v[144:147], v[100:103], a[164:167], v176, v173 op_sel_hi:[0,0,0] cbsz:4 blgp:4// 0000000055A0: D3AC7000 18035BB0 D3AD8CA4 8692C990
	v_mfma_scale_f32_16x16x128_f8f6f4 a[168:171], v[148:151], v[96:99], a[168:171], v176, v173 op_sel_hi:[0,0,0] cbsz:4 blgp:4// 0000000055B0: D3AC6800 18035BB0 D3AD8CA8 86A2C194
	v_mfma_scale_f32_16x16x128_f8f6f4 a[172:175], v[148:151], v[100:103], a[172:175], v176, v173 op_sel_hi:[0,0,0] cbsz:4 blgp:4// 0000000055C0: D3AC7800 18035BB0 D3AD8CAC 86B2C994
	s_waitcnt vmcnt(14)                                        // 0000000055D0: BF8C0F7E
	v_mfma_scale_f32_16x16x128_f8f6f4 a[48:51], v[152:155], v[56:59], a[48:51], v177, v171 op_sel_hi:[0,0,0] cbsz:4 blgp:4// 0000000055D4: D3AC6000 000357B1 D3AD8C30 84C27198
	s_addk_i32 s60, 0x100                                      // 0000000055E4: B73C0100
	buffer_load_dwordx4 v[136:139], v189, s[16:19], 0 offen    // 0000000055E8: E05C1000 800488BD
	v_mfma_scale_f32_16x16x128_f8f6f4 a[52:55], v[152:155], v[60:63], a[52:55], v177, v171 op_sel_hi:[0,0,0] cbsz:4 blgp:4// 0000000055F0: D3AC7000 000357B1 D3AD8C34 84D27998
	s_cmp_lt_i32 s60, s61                                      // 000000005600: BF043D3C
	v_mfma_scale_f32_16x16x128_f8f6f4 a[56:59], v[156:159], v[56:59], a[56:59], v177, v171 op_sel_hi:[0,0,0] cbsz:4 blgp:4// 000000005604: D3AC6800 000357B1 D3AD8C38 84E2719C
	v_mfma_scale_f32_16x16x128_f8f6f4 a[60:63], v[156:159], v[60:63], a[60:63], v177, v171 op_sel_hi:[0,0,0] cbsz:4 blgp:4// 000000005614: D3AC7800 000357B1 D3AD8C3C 84F2799C
	v_mfma_scale_f32_16x16x128_f8f6f4 a[48:51], v[160:163], v[64:67], a[48:51], v177, v171 op_sel_hi:[0,0,0] cbsz:4 blgp:4// 000000005624: D3AC6000 180357B1 D3AD8C30 84C281A0
	buffer_load_dwordx4 v[140:143], v190, s[16:19], 0 offen    // 000000005634: E05C1000 80048CBE
	v_mfma_scale_f32_16x16x128_f8f6f4 a[52:55], v[160:163], v[68:71], a[52:55], v177, v171 op_sel_hi:[0,0,0] cbsz:4 blgp:4// 00000000563C: D3AC7000 180357B1 D3AD8C34 84D289A0
	v_mfma_scale_f32_16x16x128_f8f6f4 a[56:59], v[164:167], v[64:67], a[56:59], v177, v171 op_sel_hi:[0,0,0] cbsz:4 blgp:4// 00000000564C: D3AC6800 180357B1 D3AD8C38 84E281A4
	v_mfma_scale_f32_16x16x128_f8f6f4 a[60:63], v[164:167], v[68:71], a[60:63], v177, v171 op_sel_hi:[0,0,0] cbsz:4 blgp:4// 00000000565C: D3AC7800 180357B1 D3AD8C3C 84F289A4
	s_waitcnt vmcnt(13)                                        // 00000000566C: BF8C0F7D
	s_barrier                                                  // 000000005670: BF8A0000
	v_mfma_scale_f32_16x16x128_f8f6f4 a[112:115], v[152:155], v[72:75], a[112:115], v177, v172 op_sel_hi:[0,0,0] cbsz:4 blgp:4// 000000005674: D3AC6000 000359B1 D3AD8C70 85C29198
	buffer_load_dwordx4 v[144:147], v189, s[16:19], 0 offen offset:1024// 000000005684: E05C1400 800490BD
	v_mfma_scale_f32_16x16x128_f8f6f4 a[116:119], v[152:155], v[76:79], a[116:119], v177, v172 op_sel_hi:[0,0,0] cbsz:4 blgp:4// 00000000568C: D3AC7000 000359B1 D3AD8C74 85D29998
	ds_read_b128 v[8:11], v181                                 // 00000000569C: D9FE0000 080000B5
	v_mfma_scale_f32_16x16x128_f8f6f4 a[120:123], v[156:159], v[72:75], a[120:123], v177, v172 op_sel_hi:[0,0,0] cbsz:4 blgp:4// 0000000056A4: D3AC6800 000359B1 D3AD8C78 85E2919C
	v_mfma_scale_f32_16x16x128_f8f6f4 a[124:127], v[156:159], v[76:79], a[124:127], v177, v172 op_sel_hi:[0,0,0] cbsz:4 blgp:4// 0000000056B4: D3AC7800 000359B1 D3AD8C7C 85F2999C
	ds_read_b128 v[16:19], v181 offset:64                      // 0000000056C4: D9FE0040 100000B5
	v_mfma_scale_f32_16x16x128_f8f6f4 a[112:115], v[160:163], v[80:83], a[112:115], v177, v172 op_sel_hi:[0,0,0] cbsz:4 blgp:4// 0000000056CC: D3AC6000 180359B1 D3AD8C70 85C2A1A0
	buffer_load_dwordx4 v[148:151], v190, s[16:19], 0 offen offset:1024// 0000000056DC: E05C1400 800494BE
	v_mfma_scale_f32_16x16x128_f8f6f4 a[116:119], v[160:163], v[84:87], a[116:119], v177, v172 op_sel_hi:[0,0,0] cbsz:4 blgp:4// 0000000056E4: D3AC7000 180359B1 D3AD8C74 85D2A9A0
	ds_read_b128 v[12:15], v181 offset:512                     // 0000000056F4: D9FE0200 0C0000B5
	v_mfma_scale_f32_16x16x128_f8f6f4 a[120:123], v[164:167], v[80:83], a[120:123], v177, v172 op_sel_hi:[0,0,0] cbsz:4 blgp:4// 0000000056FC: D3AC6800 180359B1 D3AD8C78 85E2A1A4
	v_mfma_scale_f32_16x16x128_f8f6f4 a[124:127], v[164:167], v[84:87], a[124:127], v177, v172 op_sel_hi:[0,0,0] cbsz:4 blgp:4// 00000000570C: D3AC7800 180359B1 D3AD8C7C 85F2A9A4
	ds_read_b128 v[20:23], v181 offset:576                     // 00000000571C: D9FE0240 140000B5
	ds_read_b32 v168, v184                                     // 000000005724: D86C0000 A80000B8
	v_mfma_scale_f32_16x16x128_f8f6f4 a[176:179], v[152:155], v[88:91], a[176:179], v177, v173 op_sel_hi:[0,0,0] cbsz:4 blgp:4// 00000000572C: D3AC6000 00035BB1 D3AD8CB0 86C2B198
	buffer_load_dword v176, v195, s[24:27], 0 offen            // 00000000573C: E0501000 8006B0C3
	v_mfma_scale_f32_16x16x128_f8f6f4 a[180:183], v[152:155], v[92:95], a[180:183], v177, v173 op_sel_hi:[0,0,0] cbsz:4 blgp:4// 000000005744: D3AC7000 00035BB1 D3AD8CB4 86D2B998
	ds_read_b128 v[24:27], v181 offset:4224                    // 000000005754: D9FE1080 180000B5
	v_mfma_scale_f32_16x16x128_f8f6f4 a[184:187], v[156:159], v[88:91], a[184:187], v177, v173 op_sel_hi:[0,0,0] cbsz:4 blgp:4// 00000000575C: D3AC6800 00035BB1 D3AD8CB8 86E2B19C
	v_mfma_scale_f32_16x16x128_f8f6f4 a[188:191], v[156:159], v[92:95], a[188:191], v177, v173 op_sel_hi:[0,0,0] cbsz:4 blgp:4// 00000000576C: D3AC7800 00035BB1 D3AD8CBC 86F2B99C
	ds_read_b128 v[32:35], v181 offset:4288                    // 00000000577C: D9FE10C0 200000B5
	v_mfma_scale_f32_16x16x128_f8f6f4 a[176:179], v[160:163], v[96:99], a[176:179], v177, v173 op_sel_hi:[0,0,0] cbsz:4 blgp:4// 000000005784: D3AC6000 18035BB1 D3AD8CB0 86C2C1A0
	v_mfma_scale_f32_16x16x128_f8f6f4 a[180:183], v[160:163], v[100:103], a[180:183], v177, v173 op_sel_hi:[0,0,0] cbsz:4 blgp:4// 000000005794: D3AC7000 18035BB1 D3AD8CB4 86D2C9A0
	ds_read_b128 v[28:31], v181 offset:4736                    // 0000000057A4: D9FE1280 1C0000B5
	v_mfma_scale_f32_16x16x128_f8f6f4 a[184:187], v[164:167], v[96:99], a[184:187], v177, v173 op_sel_hi:[0,0,0] cbsz:4 blgp:4// 0000000057AC: D3AC6800 18035BB1 D3AD8CB8 86E2C1A4
	v_mfma_scale_f32_16x16x128_f8f6f4 a[188:191], v[164:167], v[100:103], a[188:191], v177, v173 op_sel_hi:[0,0,0] cbsz:4 blgp:4// 0000000057BC: D3AC7800 18035BB1 D3AD8CBC 86F2C9A4
	ds_read_b128 v[36:39], v181 offset:4800                    // 0000000057CC: D9FE12C0 240000B5
	ds_read_b32 v169, v184 offset:256                          // 0000000057D4: D86C0100 A90000B8
	s_cbranch_scc0 label_0AF9                                  // 0000000057DC: BF840001
	s_branch label_070A                                        // 0000000057E0: BF82FC11

00000000000057e4 <label_0AF9>:
	s_waitcnt lgkmcnt(0)                                       // 0000000057E4: BF8CC07F
	s_mul_i32 s62, s47, 0x200                                  // 0000000057E8: 923EFF2F 00000200
	s_mul_i32 s63, s46, 0x80                                   // 0000000057F0: 923FFF2E 00000080
	s_add_u32 s60, s62, s63                                    // 0000000057F8: 803C3F3E
	s_add_u32 s62, s60, 0x80                                   // 0000000057FC: 803EFF3C 00000080
	s_cmp_lt_i32 s44, s62                                      // 000000005804: BF043E2C
	s_cbranch_scc1 label_0E0B                                  // 000000005808: BF850308
	s_mul_i32 s62, s36, 16                                     // 00000000580C: 923E9024
	v_add_u32_e32 v201, 0, v197                                // 000000005810: 69938A80
	v_accvgpr_read_b32 v8, a0                                  // 000000005814: D3D84008 18000100
	v_accvgpr_read_b32 v9, a1                                  // 00000000581C: D3D84009 18000101
	v_accvgpr_read_b32 v10, a2                                 // 000000005824: D3D8400A 18000102
	v_accvgpr_read_b32 v11, a3                                 // 00000000582C: D3D8400B 18000103
	v_accvgpr_read_b32 v12, a8                                 // 000000005834: D3D8400C 18000108
	v_accvgpr_read_b32 v13, a9                                 // 00000000583C: D3D8400D 18000109
	v_accvgpr_read_b32 v14, a10                                // 000000005844: D3D8400E 1800010A
	v_accvgpr_read_b32 v15, a11                                // 00000000584C: D3D8400F 1800010B
	v_cvt_pk_bf16_f32 v16, v8, v9                              // 000000005854: D2680010 00021308
	v_cvt_pk_bf16_f32 v17, v10, v11                            // 00000000585C: D2680011 0002170A
	v_cvt_pk_bf16_f32 v18, v12, v13                            // 000000005864: D2680012 00021B0C
	v_cvt_pk_bf16_f32 v19, v14, v15                            // 00000000586C: D2680013 00021F0E
	s_nop 1                                                    // 000000005874: BF800001
	v_permlane16_swap_b32_e32 v16, v18                         // 000000005878: 7E20B312
	s_nop 1                                                    // 00000000587C: BF800001
	v_permlane16_swap_b32_e32 v17, v19                         // 000000005880: 7E22B313
	s_nop 1                                                    // 000000005884: BF800001
	buffer_store_dwordx4 v[16:19], v201, s[4:7], 0 offen       // 000000005888: E07C1000 800110C9
	v_add_u32_e32 v201, s62, v201                              // 000000005890: 6993923E
	v_accvgpr_read_b32 v8, a4                                  // 000000005894: D3D84008 18000104
	v_accvgpr_read_b32 v9, a5                                  // 00000000589C: D3D84009 18000105
	v_accvgpr_read_b32 v10, a6                                 // 0000000058A4: D3D8400A 18000106
	v_accvgpr_read_b32 v11, a7                                 // 0000000058AC: D3D8400B 18000107
	v_accvgpr_read_b32 v12, a12                                // 0000000058B4: D3D8400C 1800010C
	v_accvgpr_read_b32 v13, a13                                // 0000000058BC: D3D8400D 1800010D
	v_accvgpr_read_b32 v14, a14                                // 0000000058C4: D3D8400E 1800010E
	v_accvgpr_read_b32 v15, a15                                // 0000000058CC: D3D8400F 1800010F
	v_cvt_pk_bf16_f32 v16, v8, v9                              // 0000000058D4: D2680010 00021308
	v_cvt_pk_bf16_f32 v17, v10, v11                            // 0000000058DC: D2680011 0002170A
	v_cvt_pk_bf16_f32 v18, v12, v13                            // 0000000058E4: D2680012 00021B0C
	v_cvt_pk_bf16_f32 v19, v14, v15                            // 0000000058EC: D2680013 00021F0E
	s_nop 1                                                    // 0000000058F4: BF800001
	v_permlane16_swap_b32_e32 v16, v18                         // 0000000058F8: 7E20B312
	s_nop 1                                                    // 0000000058FC: BF800001
	v_permlane16_swap_b32_e32 v17, v19                         // 000000005900: 7E22B313
	s_nop 1                                                    // 000000005904: BF800001
	buffer_store_dwordx4 v[16:19], v201, s[4:7], 0 offen       // 000000005908: E07C1000 800110C9
	v_add_u32_e32 v201, s62, v201                              // 000000005910: 6993923E
	v_accvgpr_read_b32 v8, a64                                 // 000000005914: D3D84008 18000140
	v_accvgpr_read_b32 v9, a65                                 // 00000000591C: D3D84009 18000141
	v_accvgpr_read_b32 v10, a66                                // 000000005924: D3D8400A 18000142
	v_accvgpr_read_b32 v11, a67                                // 00000000592C: D3D8400B 18000143
	v_accvgpr_read_b32 v12, a72                                // 000000005934: D3D8400C 18000148
	v_accvgpr_read_b32 v13, a73                                // 00000000593C: D3D8400D 18000149
	v_accvgpr_read_b32 v14, a74                                // 000000005944: D3D8400E 1800014A
	v_accvgpr_read_b32 v15, a75                                // 00000000594C: D3D8400F 1800014B
	v_cvt_pk_bf16_f32 v16, v8, v9                              // 000000005954: D2680010 00021308
	v_cvt_pk_bf16_f32 v17, v10, v11                            // 00000000595C: D2680011 0002170A
	v_cvt_pk_bf16_f32 v18, v12, v13                            // 000000005964: D2680012 00021B0C
	v_cvt_pk_bf16_f32 v19, v14, v15                            // 00000000596C: D2680013 00021F0E
	s_nop 1                                                    // 000000005974: BF800001
	v_permlane16_swap_b32_e32 v16, v18                         // 000000005978: 7E20B312
	s_nop 1                                                    // 00000000597C: BF800001
	v_permlane16_swap_b32_e32 v17, v19                         // 000000005980: 7E22B313
	s_nop 1                                                    // 000000005984: BF800001
	buffer_store_dwordx4 v[16:19], v201, s[4:7], 0 offen       // 000000005988: E07C1000 800110C9
	v_add_u32_e32 v201, s62, v201                              // 000000005990: 6993923E
	v_accvgpr_read_b32 v8, a68                                 // 000000005994: D3D84008 18000144
	v_accvgpr_read_b32 v9, a69                                 // 00000000599C: D3D84009 18000145
	v_accvgpr_read_b32 v10, a70                                // 0000000059A4: D3D8400A 18000146
	v_accvgpr_read_b32 v11, a71                                // 0000000059AC: D3D8400B 18000147
	v_accvgpr_read_b32 v12, a76                                // 0000000059B4: D3D8400C 1800014C
	v_accvgpr_read_b32 v13, a77                                // 0000000059BC: D3D8400D 1800014D
	v_accvgpr_read_b32 v14, a78                                // 0000000059C4: D3D8400E 1800014E
	v_accvgpr_read_b32 v15, a79                                // 0000000059CC: D3D8400F 1800014F
	v_cvt_pk_bf16_f32 v16, v8, v9                              // 0000000059D4: D2680010 00021308
	v_cvt_pk_bf16_f32 v17, v10, v11                            // 0000000059DC: D2680011 0002170A
	v_cvt_pk_bf16_f32 v18, v12, v13                            // 0000000059E4: D2680012 00021B0C
	v_cvt_pk_bf16_f32 v19, v14, v15                            // 0000000059EC: D2680013 00021F0E
	s_nop 1                                                    // 0000000059F4: BF800001
	v_permlane16_swap_b32_e32 v16, v18                         // 0000000059F8: 7E20B312
	s_nop 1                                                    // 0000000059FC: BF800001
	v_permlane16_swap_b32_e32 v17, v19                         // 000000005A00: 7E22B313
	s_nop 1                                                    // 000000005A04: BF800001
	buffer_store_dwordx4 v[16:19], v201, s[4:7], 0 offen       // 000000005A08: E07C1000 800110C9
	v_add_u32_e32 v201, s62, v201                              // 000000005A10: 6993923E
	v_accvgpr_read_b32 v8, a128                                // 000000005A14: D3D84008 18000180
	v_accvgpr_read_b32 v9, a129                                // 000000005A1C: D3D84009 18000181
	v_accvgpr_read_b32 v10, a130                               // 000000005A24: D3D8400A 18000182
	v_accvgpr_read_b32 v11, a131                               // 000000005A2C: D3D8400B 18000183
	v_accvgpr_read_b32 v12, a136                               // 000000005A34: D3D8400C 18000188
	v_accvgpr_read_b32 v13, a137                               // 000000005A3C: D3D8400D 18000189
	v_accvgpr_read_b32 v14, a138                               // 000000005A44: D3D8400E 1800018A
	v_accvgpr_read_b32 v15, a139                               // 000000005A4C: D3D8400F 1800018B
	v_cvt_pk_bf16_f32 v16, v8, v9                              // 000000005A54: D2680010 00021308
	v_cvt_pk_bf16_f32 v17, v10, v11                            // 000000005A5C: D2680011 0002170A
	v_cvt_pk_bf16_f32 v18, v12, v13                            // 000000005A64: D2680012 00021B0C
	v_cvt_pk_bf16_f32 v19, v14, v15                            // 000000005A6C: D2680013 00021F0E
	s_nop 1                                                    // 000000005A74: BF800001
	v_permlane16_swap_b32_e32 v16, v18                         // 000000005A78: 7E20B312
	s_nop 1                                                    // 000000005A7C: BF800001
	v_permlane16_swap_b32_e32 v17, v19                         // 000000005A80: 7E22B313
	s_nop 1                                                    // 000000005A84: BF800001
	buffer_store_dwordx4 v[16:19], v201, s[4:7], 0 offen       // 000000005A88: E07C1000 800110C9
	v_add_u32_e32 v201, s62, v201                              // 000000005A90: 6993923E
	v_accvgpr_read_b32 v8, a132                                // 000000005A94: D3D84008 18000184
	v_accvgpr_read_b32 v9, a133                                // 000000005A9C: D3D84009 18000185
	v_accvgpr_read_b32 v10, a134                               // 000000005AA4: D3D8400A 18000186
	v_accvgpr_read_b32 v11, a135                               // 000000005AAC: D3D8400B 18000187
	v_accvgpr_read_b32 v12, a140                               // 000000005AB4: D3D8400C 1800018C
	v_accvgpr_read_b32 v13, a141                               // 000000005ABC: D3D8400D 1800018D
	v_accvgpr_read_b32 v14, a142                               // 000000005AC4: D3D8400E 1800018E
	v_accvgpr_read_b32 v15, a143                               // 000000005ACC: D3D8400F 1800018F
	v_cvt_pk_bf16_f32 v16, v8, v9                              // 000000005AD4: D2680010 00021308
	v_cvt_pk_bf16_f32 v17, v10, v11                            // 000000005ADC: D2680011 0002170A
	v_cvt_pk_bf16_f32 v18, v12, v13                            // 000000005AE4: D2680012 00021B0C
	v_cvt_pk_bf16_f32 v19, v14, v15                            // 000000005AEC: D2680013 00021F0E
	s_nop 1                                                    // 000000005AF4: BF800001
	v_permlane16_swap_b32_e32 v16, v18                         // 000000005AF8: 7E20B312
	s_nop 1                                                    // 000000005AFC: BF800001
	v_permlane16_swap_b32_e32 v17, v19                         // 000000005B00: 7E22B313
	s_nop 1                                                    // 000000005B04: BF800001
	buffer_store_dwordx4 v[16:19], v201, s[4:7], 0 offen       // 000000005B08: E07C1000 800110C9
	v_add_u32_e32 v201, s62, v201                              // 000000005B10: 6993923E
	v_add_u32_e32 v201, 64, v197                               // 000000005B14: 69938AC0
	v_accvgpr_read_b32 v8, a16                                 // 000000005B18: D3D84008 18000110
	v_accvgpr_read_b32 v9, a17                                 // 000000005B20: D3D84009 18000111
	v_accvgpr_read_b32 v10, a18                                // 000000005B28: D3D8400A 18000112
	v_accvgpr_read_b32 v11, a19                                // 000000005B30: D3D8400B 18000113
	v_accvgpr_read_b32 v12, a24                                // 000000005B38: D3D8400C 18000118
	v_accvgpr_read_b32 v13, a25                                // 000000005B40: D3D8400D 18000119
	v_accvgpr_read_b32 v14, a26                                // 000000005B48: D3D8400E 1800011A
	v_accvgpr_read_b32 v15, a27                                // 000000005B50: D3D8400F 1800011B
	v_cvt_pk_bf16_f32 v16, v8, v9                              // 000000005B58: D2680010 00021308
	v_cvt_pk_bf16_f32 v17, v10, v11                            // 000000005B60: D2680011 0002170A
	v_cvt_pk_bf16_f32 v18, v12, v13                            // 000000005B68: D2680012 00021B0C
	v_cvt_pk_bf16_f32 v19, v14, v15                            // 000000005B70: D2680013 00021F0E
	s_nop 1                                                    // 000000005B78: BF800001
	v_permlane16_swap_b32_e32 v16, v18                         // 000000005B7C: 7E20B312
	s_nop 1                                                    // 000000005B80: BF800001
	v_permlane16_swap_b32_e32 v17, v19                         // 000000005B84: 7E22B313
	s_nop 1                                                    // 000000005B88: BF800001
	buffer_store_dwordx4 v[16:19], v201, s[4:7], 0 offen       // 000000005B8C: E07C1000 800110C9
	v_add_u32_e32 v201, s62, v201                              // 000000005B94: 6993923E
	v_accvgpr_read_b32 v8, a20                                 // 000000005B98: D3D84008 18000114
	v_accvgpr_read_b32 v9, a21                                 // 000000005BA0: D3D84009 18000115
	v_accvgpr_read_b32 v10, a22                                // 000000005BA8: D3D8400A 18000116
	v_accvgpr_read_b32 v11, a23                                // 000000005BB0: D3D8400B 18000117
	v_accvgpr_read_b32 v12, a28                                // 000000005BB8: D3D8400C 1800011C
	v_accvgpr_read_b32 v13, a29                                // 000000005BC0: D3D8400D 1800011D
	v_accvgpr_read_b32 v14, a30                                // 000000005BC8: D3D8400E 1800011E
	v_accvgpr_read_b32 v15, a31                                // 000000005BD0: D3D8400F 1800011F
	v_cvt_pk_bf16_f32 v16, v8, v9                              // 000000005BD8: D2680010 00021308
	v_cvt_pk_bf16_f32 v17, v10, v11                            // 000000005BE0: D2680011 0002170A
	v_cvt_pk_bf16_f32 v18, v12, v13                            // 000000005BE8: D2680012 00021B0C
	v_cvt_pk_bf16_f32 v19, v14, v15                            // 000000005BF0: D2680013 00021F0E
	s_nop 1                                                    // 000000005BF8: BF800001
	v_permlane16_swap_b32_e32 v16, v18                         // 000000005BFC: 7E20B312
	s_nop 1                                                    // 000000005C00: BF800001
	v_permlane16_swap_b32_e32 v17, v19                         // 000000005C04: 7E22B313
	s_nop 1                                                    // 000000005C08: BF800001
	buffer_store_dwordx4 v[16:19], v201, s[4:7], 0 offen       // 000000005C0C: E07C1000 800110C9
	v_add_u32_e32 v201, s62, v201                              // 000000005C14: 6993923E
	v_accvgpr_read_b32 v8, a80                                 // 000000005C18: D3D84008 18000150
	v_accvgpr_read_b32 v9, a81                                 // 000000005C20: D3D84009 18000151
	v_accvgpr_read_b32 v10, a82                                // 000000005C28: D3D8400A 18000152
	v_accvgpr_read_b32 v11, a83                                // 000000005C30: D3D8400B 18000153
	v_accvgpr_read_b32 v12, a88                                // 000000005C38: D3D8400C 18000158
	v_accvgpr_read_b32 v13, a89                                // 000000005C40: D3D8400D 18000159
	v_accvgpr_read_b32 v14, a90                                // 000000005C48: D3D8400E 1800015A
	v_accvgpr_read_b32 v15, a91                                // 000000005C50: D3D8400F 1800015B
	v_cvt_pk_bf16_f32 v16, v8, v9                              // 000000005C58: D2680010 00021308
	v_cvt_pk_bf16_f32 v17, v10, v11                            // 000000005C60: D2680011 0002170A
	v_cvt_pk_bf16_f32 v18, v12, v13                            // 000000005C68: D2680012 00021B0C
	v_cvt_pk_bf16_f32 v19, v14, v15                            // 000000005C70: D2680013 00021F0E
	s_nop 1                                                    // 000000005C78: BF800001
	v_permlane16_swap_b32_e32 v16, v18                         // 000000005C7C: 7E20B312
	s_nop 1                                                    // 000000005C80: BF800001
	v_permlane16_swap_b32_e32 v17, v19                         // 000000005C84: 7E22B313
	s_nop 1                                                    // 000000005C88: BF800001
	buffer_store_dwordx4 v[16:19], v201, s[4:7], 0 offen       // 000000005C8C: E07C1000 800110C9
	v_add_u32_e32 v201, s62, v201                              // 000000005C94: 6993923E
	v_accvgpr_read_b32 v8, a84                                 // 000000005C98: D3D84008 18000154
	v_accvgpr_read_b32 v9, a85                                 // 000000005CA0: D3D84009 18000155
	v_accvgpr_read_b32 v10, a86                                // 000000005CA8: D3D8400A 18000156
	v_accvgpr_read_b32 v11, a87                                // 000000005CB0: D3D8400B 18000157
	v_accvgpr_read_b32 v12, a92                                // 000000005CB8: D3D8400C 1800015C
	v_accvgpr_read_b32 v13, a93                                // 000000005CC0: D3D8400D 1800015D
	v_accvgpr_read_b32 v14, a94                                // 000000005CC8: D3D8400E 1800015E
	v_accvgpr_read_b32 v15, a95                                // 000000005CD0: D3D8400F 1800015F
	v_cvt_pk_bf16_f32 v16, v8, v9                              // 000000005CD8: D2680010 00021308
	v_cvt_pk_bf16_f32 v17, v10, v11                            // 000000005CE0: D2680011 0002170A
	v_cvt_pk_bf16_f32 v18, v12, v13                            // 000000005CE8: D2680012 00021B0C
	v_cvt_pk_bf16_f32 v19, v14, v15                            // 000000005CF0: D2680013 00021F0E
	s_nop 1                                                    // 000000005CF8: BF800001
	v_permlane16_swap_b32_e32 v16, v18                         // 000000005CFC: 7E20B312
	s_nop 1                                                    // 000000005D00: BF800001
	v_permlane16_swap_b32_e32 v17, v19                         // 000000005D04: 7E22B313
	s_nop 1                                                    // 000000005D08: BF800001
	buffer_store_dwordx4 v[16:19], v201, s[4:7], 0 offen       // 000000005D0C: E07C1000 800110C9
	v_add_u32_e32 v201, s62, v201                              // 000000005D14: 6993923E
	v_accvgpr_read_b32 v8, a144                                // 000000005D18: D3D84008 18000190
	v_accvgpr_read_b32 v9, a145                                // 000000005D20: D3D84009 18000191
	v_accvgpr_read_b32 v10, a146                               // 000000005D28: D3D8400A 18000192
	v_accvgpr_read_b32 v11, a147                               // 000000005D30: D3D8400B 18000193
	v_accvgpr_read_b32 v12, a152                               // 000000005D38: D3D8400C 18000198
	v_accvgpr_read_b32 v13, a153                               // 000000005D40: D3D8400D 18000199
	v_accvgpr_read_b32 v14, a154                               // 000000005D48: D3D8400E 1800019A
	v_accvgpr_read_b32 v15, a155                               // 000000005D50: D3D8400F 1800019B
	v_cvt_pk_bf16_f32 v16, v8, v9                              // 000000005D58: D2680010 00021308
	v_cvt_pk_bf16_f32 v17, v10, v11                            // 000000005D60: D2680011 0002170A
	v_cvt_pk_bf16_f32 v18, v12, v13                            // 000000005D68: D2680012 00021B0C
	v_cvt_pk_bf16_f32 v19, v14, v15                            // 000000005D70: D2680013 00021F0E
	s_nop 1                                                    // 000000005D78: BF800001
	v_permlane16_swap_b32_e32 v16, v18                         // 000000005D7C: 7E20B312
	s_nop 1                                                    // 000000005D80: BF800001
	v_permlane16_swap_b32_e32 v17, v19                         // 000000005D84: 7E22B313
	s_nop 1                                                    // 000000005D88: BF800001
	buffer_store_dwordx4 v[16:19], v201, s[4:7], 0 offen       // 000000005D8C: E07C1000 800110C9
	v_add_u32_e32 v201, s62, v201                              // 000000005D94: 6993923E
	v_accvgpr_read_b32 v8, a148                                // 000000005D98: D3D84008 18000194
	v_accvgpr_read_b32 v9, a149                                // 000000005DA0: D3D84009 18000195
	v_accvgpr_read_b32 v10, a150                               // 000000005DA8: D3D8400A 18000196
	v_accvgpr_read_b32 v11, a151                               // 000000005DB0: D3D8400B 18000197
	v_accvgpr_read_b32 v12, a156                               // 000000005DB8: D3D8400C 1800019C
	v_accvgpr_read_b32 v13, a157                               // 000000005DC0: D3D8400D 1800019D
	v_accvgpr_read_b32 v14, a158                               // 000000005DC8: D3D8400E 1800019E
	v_accvgpr_read_b32 v15, a159                               // 000000005DD0: D3D8400F 1800019F
	v_cvt_pk_bf16_f32 v16, v8, v9                              // 000000005DD8: D2680010 00021308
	v_cvt_pk_bf16_f32 v17, v10, v11                            // 000000005DE0: D2680011 0002170A
	v_cvt_pk_bf16_f32 v18, v12, v13                            // 000000005DE8: D2680012 00021B0C
	v_cvt_pk_bf16_f32 v19, v14, v15                            // 000000005DF0: D2680013 00021F0E
	s_nop 1                                                    // 000000005DF8: BF800001
	v_permlane16_swap_b32_e32 v16, v18                         // 000000005DFC: 7E20B312
	s_nop 1                                                    // 000000005E00: BF800001
	v_permlane16_swap_b32_e32 v17, v19                         // 000000005E04: 7E22B313
	s_nop 1                                                    // 000000005E08: BF800001
	buffer_store_dwordx4 v[16:19], v201, s[4:7], 0 offen       // 000000005E0C: E07C1000 800110C9
	v_add_u32_e32 v201, s62, v201                              // 000000005E14: 6993923E
	v_add_u32_e32 v201, 0x80, v197                             // 000000005E18: 69938AFF 00000080
	v_accvgpr_read_b32 v8, a32                                 // 000000005E20: D3D84008 18000120
	v_accvgpr_read_b32 v9, a33                                 // 000000005E28: D3D84009 18000121
	v_accvgpr_read_b32 v10, a34                                // 000000005E30: D3D8400A 18000122
	v_accvgpr_read_b32 v11, a35                                // 000000005E38: D3D8400B 18000123
	v_accvgpr_read_b32 v12, a40                                // 000000005E40: D3D8400C 18000128
	v_accvgpr_read_b32 v13, a41                                // 000000005E48: D3D8400D 18000129
	v_accvgpr_read_b32 v14, a42                                // 000000005E50: D3D8400E 1800012A
	v_accvgpr_read_b32 v15, a43                                // 000000005E58: D3D8400F 1800012B
	v_cvt_pk_bf16_f32 v16, v8, v9                              // 000000005E60: D2680010 00021308
	v_cvt_pk_bf16_f32 v17, v10, v11                            // 000000005E68: D2680011 0002170A
	v_cvt_pk_bf16_f32 v18, v12, v13                            // 000000005E70: D2680012 00021B0C
	v_cvt_pk_bf16_f32 v19, v14, v15                            // 000000005E78: D2680013 00021F0E
	s_nop 1                                                    // 000000005E80: BF800001
	v_permlane16_swap_b32_e32 v16, v18                         // 000000005E84: 7E20B312
	s_nop 1                                                    // 000000005E88: BF800001
	v_permlane16_swap_b32_e32 v17, v19                         // 000000005E8C: 7E22B313
	s_nop 1                                                    // 000000005E90: BF800001
	buffer_store_dwordx4 v[16:19], v201, s[4:7], 0 offen       // 000000005E94: E07C1000 800110C9
	v_add_u32_e32 v201, s62, v201                              // 000000005E9C: 6993923E
	v_accvgpr_read_b32 v8, a36                                 // 000000005EA0: D3D84008 18000124
	v_accvgpr_read_b32 v9, a37                                 // 000000005EA8: D3D84009 18000125
	v_accvgpr_read_b32 v10, a38                                // 000000005EB0: D3D8400A 18000126
	v_accvgpr_read_b32 v11, a39                                // 000000005EB8: D3D8400B 18000127
	v_accvgpr_read_b32 v12, a44                                // 000000005EC0: D3D8400C 1800012C
	v_accvgpr_read_b32 v13, a45                                // 000000005EC8: D3D8400D 1800012D
	v_accvgpr_read_b32 v14, a46                                // 000000005ED0: D3D8400E 1800012E
	v_accvgpr_read_b32 v15, a47                                // 000000005ED8: D3D8400F 1800012F
	v_cvt_pk_bf16_f32 v16, v8, v9                              // 000000005EE0: D2680010 00021308
	v_cvt_pk_bf16_f32 v17, v10, v11                            // 000000005EE8: D2680011 0002170A
	v_cvt_pk_bf16_f32 v18, v12, v13                            // 000000005EF0: D2680012 00021B0C
	v_cvt_pk_bf16_f32 v19, v14, v15                            // 000000005EF8: D2680013 00021F0E
	s_nop 1                                                    // 000000005F00: BF800001
	v_permlane16_swap_b32_e32 v16, v18                         // 000000005F04: 7E20B312
	s_nop 1                                                    // 000000005F08: BF800001
	v_permlane16_swap_b32_e32 v17, v19                         // 000000005F0C: 7E22B313
	s_nop 1                                                    // 000000005F10: BF800001
	buffer_store_dwordx4 v[16:19], v201, s[4:7], 0 offen       // 000000005F14: E07C1000 800110C9
	v_add_u32_e32 v201, s62, v201                              // 000000005F1C: 6993923E
	v_accvgpr_read_b32 v8, a96                                 // 000000005F20: D3D84008 18000160
	v_accvgpr_read_b32 v9, a97                                 // 000000005F28: D3D84009 18000161
	v_accvgpr_read_b32 v10, a98                                // 000000005F30: D3D8400A 18000162
	v_accvgpr_read_b32 v11, a99                                // 000000005F38: D3D8400B 18000163
	v_accvgpr_read_b32 v12, a104                               // 000000005F40: D3D8400C 18000168
	v_accvgpr_read_b32 v13, a105                               // 000000005F48: D3D8400D 18000169
	v_accvgpr_read_b32 v14, a106                               // 000000005F50: D3D8400E 1800016A
	v_accvgpr_read_b32 v15, a107                               // 000000005F58: D3D8400F 1800016B
	v_cvt_pk_bf16_f32 v16, v8, v9                              // 000000005F60: D2680010 00021308
	v_cvt_pk_bf16_f32 v17, v10, v11                            // 000000005F68: D2680011 0002170A
	v_cvt_pk_bf16_f32 v18, v12, v13                            // 000000005F70: D2680012 00021B0C
	v_cvt_pk_bf16_f32 v19, v14, v15                            // 000000005F78: D2680013 00021F0E
	s_nop 1                                                    // 000000005F80: BF800001
	v_permlane16_swap_b32_e32 v16, v18                         // 000000005F84: 7E20B312
	s_nop 1                                                    // 000000005F88: BF800001
	v_permlane16_swap_b32_e32 v17, v19                         // 000000005F8C: 7E22B313
	s_nop 1                                                    // 000000005F90: BF800001
	buffer_store_dwordx4 v[16:19], v201, s[4:7], 0 offen       // 000000005F94: E07C1000 800110C9
	v_add_u32_e32 v201, s62, v201                              // 000000005F9C: 6993923E
	v_accvgpr_read_b32 v8, a100                                // 000000005FA0: D3D84008 18000164
	v_accvgpr_read_b32 v9, a101                                // 000000005FA8: D3D84009 18000165
	v_accvgpr_read_b32 v10, a102                               // 000000005FB0: D3D8400A 18000166
	v_accvgpr_read_b32 v11, a103                               // 000000005FB8: D3D8400B 18000167
	v_accvgpr_read_b32 v12, a108                               // 000000005FC0: D3D8400C 1800016C
	v_accvgpr_read_b32 v13, a109                               // 000000005FC8: D3D8400D 1800016D
	v_accvgpr_read_b32 v14, a110                               // 000000005FD0: D3D8400E 1800016E
	v_accvgpr_read_b32 v15, a111                               // 000000005FD8: D3D8400F 1800016F
	v_cvt_pk_bf16_f32 v16, v8, v9                              // 000000005FE0: D2680010 00021308
	v_cvt_pk_bf16_f32 v17, v10, v11                            // 000000005FE8: D2680011 0002170A
	v_cvt_pk_bf16_f32 v18, v12, v13                            // 000000005FF0: D2680012 00021B0C
	v_cvt_pk_bf16_f32 v19, v14, v15                            // 000000005FF8: D2680013 00021F0E
	s_nop 1                                                    // 000000006000: BF800001
	v_permlane16_swap_b32_e32 v16, v18                         // 000000006004: 7E20B312
	s_nop 1                                                    // 000000006008: BF800001
	v_permlane16_swap_b32_e32 v17, v19                         // 00000000600C: 7E22B313
	s_nop 1                                                    // 000000006010: BF800001
	buffer_store_dwordx4 v[16:19], v201, s[4:7], 0 offen       // 000000006014: E07C1000 800110C9
	v_add_u32_e32 v201, s62, v201                              // 00000000601C: 6993923E
	v_accvgpr_read_b32 v8, a160                                // 000000006020: D3D84008 180001A0
	v_accvgpr_read_b32 v9, a161                                // 000000006028: D3D84009 180001A1
	v_accvgpr_read_b32 v10, a162                               // 000000006030: D3D8400A 180001A2
	v_accvgpr_read_b32 v11, a163                               // 000000006038: D3D8400B 180001A3
	v_accvgpr_read_b32 v12, a168                               // 000000006040: D3D8400C 180001A8
	v_accvgpr_read_b32 v13, a169                               // 000000006048: D3D8400D 180001A9
	v_accvgpr_read_b32 v14, a170                               // 000000006050: D3D8400E 180001AA
	v_accvgpr_read_b32 v15, a171                               // 000000006058: D3D8400F 180001AB
	v_cvt_pk_bf16_f32 v16, v8, v9                              // 000000006060: D2680010 00021308
	v_cvt_pk_bf16_f32 v17, v10, v11                            // 000000006068: D2680011 0002170A
	v_cvt_pk_bf16_f32 v18, v12, v13                            // 000000006070: D2680012 00021B0C
	v_cvt_pk_bf16_f32 v19, v14, v15                            // 000000006078: D2680013 00021F0E
	s_nop 1                                                    // 000000006080: BF800001
	v_permlane16_swap_b32_e32 v16, v18                         // 000000006084: 7E20B312
	s_nop 1                                                    // 000000006088: BF800001
	v_permlane16_swap_b32_e32 v17, v19                         // 00000000608C: 7E22B313
	s_nop 1                                                    // 000000006090: BF800001
	buffer_store_dwordx4 v[16:19], v201, s[4:7], 0 offen       // 000000006094: E07C1000 800110C9
	v_add_u32_e32 v201, s62, v201                              // 00000000609C: 6993923E
	v_accvgpr_read_b32 v8, a164                                // 0000000060A0: D3D84008 180001A4
	v_accvgpr_read_b32 v9, a165                                // 0000000060A8: D3D84009 180001A5
	v_accvgpr_read_b32 v10, a166                               // 0000000060B0: D3D8400A 180001A6
	v_accvgpr_read_b32 v11, a167                               // 0000000060B8: D3D8400B 180001A7
	v_accvgpr_read_b32 v12, a172                               // 0000000060C0: D3D8400C 180001AC
	v_accvgpr_read_b32 v13, a173                               // 0000000060C8: D3D8400D 180001AD
	v_accvgpr_read_b32 v14, a174                               // 0000000060D0: D3D8400E 180001AE
	v_accvgpr_read_b32 v15, a175                               // 0000000060D8: D3D8400F 180001AF
	v_cvt_pk_bf16_f32 v16, v8, v9                              // 0000000060E0: D2680010 00021308
	v_cvt_pk_bf16_f32 v17, v10, v11                            // 0000000060E8: D2680011 0002170A
	v_cvt_pk_bf16_f32 v18, v12, v13                            // 0000000060F0: D2680012 00021B0C
	v_cvt_pk_bf16_f32 v19, v14, v15                            // 0000000060F8: D2680013 00021F0E
	s_nop 1                                                    // 000000006100: BF800001
	v_permlane16_swap_b32_e32 v16, v18                         // 000000006104: 7E20B312
	s_nop 1                                                    // 000000006108: BF800001
	v_permlane16_swap_b32_e32 v17, v19                         // 00000000610C: 7E22B313
	s_nop 1                                                    // 000000006110: BF800001
	buffer_store_dwordx4 v[16:19], v201, s[4:7], 0 offen       // 000000006114: E07C1000 800110C9
	v_add_u32_e32 v201, s62, v201                              // 00000000611C: 6993923E
	v_add_u32_e32 v201, 0xc0, v197                             // 000000006120: 69938AFF 000000C0
	v_accvgpr_read_b32 v8, a48                                 // 000000006128: D3D84008 18000130
	v_accvgpr_read_b32 v9, a49                                 // 000000006130: D3D84009 18000131
	v_accvgpr_read_b32 v10, a50                                // 000000006138: D3D8400A 18000132
	v_accvgpr_read_b32 v11, a51                                // 000000006140: D3D8400B 18000133
	v_accvgpr_read_b32 v12, a56                                // 000000006148: D3D8400C 18000138
	v_accvgpr_read_b32 v13, a57                                // 000000006150: D3D8400D 18000139
	v_accvgpr_read_b32 v14, a58                                // 000000006158: D3D8400E 1800013A
	v_accvgpr_read_b32 v15, a59                                // 000000006160: D3D8400F 1800013B
	v_cvt_pk_bf16_f32 v16, v8, v9                              // 000000006168: D2680010 00021308
	v_cvt_pk_bf16_f32 v17, v10, v11                            // 000000006170: D2680011 0002170A
	v_cvt_pk_bf16_f32 v18, v12, v13                            // 000000006178: D2680012 00021B0C
	v_cvt_pk_bf16_f32 v19, v14, v15                            // 000000006180: D2680013 00021F0E
	s_nop 1                                                    // 000000006188: BF800001
	v_permlane16_swap_b32_e32 v16, v18                         // 00000000618C: 7E20B312
	s_nop 1                                                    // 000000006190: BF800001
	v_permlane16_swap_b32_e32 v17, v19                         // 000000006194: 7E22B313
	s_nop 1                                                    // 000000006198: BF800001
	buffer_store_dwordx4 v[16:19], v201, s[4:7], 0 offen       // 00000000619C: E07C1000 800110C9
	v_add_u32_e32 v201, s62, v201                              // 0000000061A4: 6993923E
	v_accvgpr_read_b32 v8, a52                                 // 0000000061A8: D3D84008 18000134
	v_accvgpr_read_b32 v9, a53                                 // 0000000061B0: D3D84009 18000135
	v_accvgpr_read_b32 v10, a54                                // 0000000061B8: D3D8400A 18000136
	v_accvgpr_read_b32 v11, a55                                // 0000000061C0: D3D8400B 18000137
	v_accvgpr_read_b32 v12, a60                                // 0000000061C8: D3D8400C 1800013C
	v_accvgpr_read_b32 v13, a61                                // 0000000061D0: D3D8400D 1800013D
	v_accvgpr_read_b32 v14, a62                                // 0000000061D8: D3D8400E 1800013E
	v_accvgpr_read_b32 v15, a63                                // 0000000061E0: D3D8400F 1800013F
	v_cvt_pk_bf16_f32 v16, v8, v9                              // 0000000061E8: D2680010 00021308
	v_cvt_pk_bf16_f32 v17, v10, v11                            // 0000000061F0: D2680011 0002170A
	v_cvt_pk_bf16_f32 v18, v12, v13                            // 0000000061F8: D2680012 00021B0C
	v_cvt_pk_bf16_f32 v19, v14, v15                            // 000000006200: D2680013 00021F0E
	s_nop 1                                                    // 000000006208: BF800001
	v_permlane16_swap_b32_e32 v16, v18                         // 00000000620C: 7E20B312
	s_nop 1                                                    // 000000006210: BF800001
	v_permlane16_swap_b32_e32 v17, v19                         // 000000006214: 7E22B313
	s_nop 1                                                    // 000000006218: BF800001
	buffer_store_dwordx4 v[16:19], v201, s[4:7], 0 offen       // 00000000621C: E07C1000 800110C9
	v_add_u32_e32 v201, s62, v201                              // 000000006224: 6993923E
	v_accvgpr_read_b32 v8, a112                                // 000000006228: D3D84008 18000170
	v_accvgpr_read_b32 v9, a113                                // 000000006230: D3D84009 18000171
	v_accvgpr_read_b32 v10, a114                               // 000000006238: D3D8400A 18000172
	v_accvgpr_read_b32 v11, a115                               // 000000006240: D3D8400B 18000173
	v_accvgpr_read_b32 v12, a120                               // 000000006248: D3D8400C 18000178
	v_accvgpr_read_b32 v13, a121                               // 000000006250: D3D8400D 18000179
	v_accvgpr_read_b32 v14, a122                               // 000000006258: D3D8400E 1800017A
	v_accvgpr_read_b32 v15, a123                               // 000000006260: D3D8400F 1800017B
	v_cvt_pk_bf16_f32 v16, v8, v9                              // 000000006268: D2680010 00021308
	v_cvt_pk_bf16_f32 v17, v10, v11                            // 000000006270: D2680011 0002170A
	v_cvt_pk_bf16_f32 v18, v12, v13                            // 000000006278: D2680012 00021B0C
	v_cvt_pk_bf16_f32 v19, v14, v15                            // 000000006280: D2680013 00021F0E
	s_nop 1                                                    // 000000006288: BF800001
	v_permlane16_swap_b32_e32 v16, v18                         // 00000000628C: 7E20B312
	s_nop 1                                                    // 000000006290: BF800001
	v_permlane16_swap_b32_e32 v17, v19                         // 000000006294: 7E22B313
	s_nop 1                                                    // 000000006298: BF800001
	buffer_store_dwordx4 v[16:19], v201, s[4:7], 0 offen       // 00000000629C: E07C1000 800110C9
	v_add_u32_e32 v201, s62, v201                              // 0000000062A4: 6993923E
	v_accvgpr_read_b32 v8, a116                                // 0000000062A8: D3D84008 18000174
	v_accvgpr_read_b32 v9, a117                                // 0000000062B0: D3D84009 18000175
	v_accvgpr_read_b32 v10, a118                               // 0000000062B8: D3D8400A 18000176
	v_accvgpr_read_b32 v11, a119                               // 0000000062C0: D3D8400B 18000177
	v_accvgpr_read_b32 v12, a124                               // 0000000062C8: D3D8400C 1800017C
	v_accvgpr_read_b32 v13, a125                               // 0000000062D0: D3D8400D 1800017D
	v_accvgpr_read_b32 v14, a126                               // 0000000062D8: D3D8400E 1800017E
	v_accvgpr_read_b32 v15, a127                               // 0000000062E0: D3D8400F 1800017F
	v_cvt_pk_bf16_f32 v16, v8, v9                              // 0000000062E8: D2680010 00021308
	v_cvt_pk_bf16_f32 v17, v10, v11                            // 0000000062F0: D2680011 0002170A
	v_cvt_pk_bf16_f32 v18, v12, v13                            // 0000000062F8: D2680012 00021B0C
	v_cvt_pk_bf16_f32 v19, v14, v15                            // 000000006300: D2680013 00021F0E
	s_nop 1                                                    // 000000006308: BF800001
	v_permlane16_swap_b32_e32 v16, v18                         // 00000000630C: 7E20B312
	s_nop 1                                                    // 000000006310: BF800001
	v_permlane16_swap_b32_e32 v17, v19                         // 000000006314: 7E22B313
	s_nop 1                                                    // 000000006318: BF800001
	buffer_store_dwordx4 v[16:19], v201, s[4:7], 0 offen       // 00000000631C: E07C1000 800110C9
	v_add_u32_e32 v201, s62, v201                              // 000000006324: 6993923E
	v_accvgpr_read_b32 v8, a176                                // 000000006328: D3D84008 180001B0
	v_accvgpr_read_b32 v9, a177                                // 000000006330: D3D84009 180001B1
	v_accvgpr_read_b32 v10, a178                               // 000000006338: D3D8400A 180001B2
	v_accvgpr_read_b32 v11, a179                               // 000000006340: D3D8400B 180001B3
	v_accvgpr_read_b32 v12, a184                               // 000000006348: D3D8400C 180001B8
	v_accvgpr_read_b32 v13, a185                               // 000000006350: D3D8400D 180001B9
	v_accvgpr_read_b32 v14, a186                               // 000000006358: D3D8400E 180001BA
	v_accvgpr_read_b32 v15, a187                               // 000000006360: D3D8400F 180001BB
	v_cvt_pk_bf16_f32 v16, v8, v9                              // 000000006368: D2680010 00021308
	v_cvt_pk_bf16_f32 v17, v10, v11                            // 000000006370: D2680011 0002170A
	v_cvt_pk_bf16_f32 v18, v12, v13                            // 000000006378: D2680012 00021B0C
	v_cvt_pk_bf16_f32 v19, v14, v15                            // 000000006380: D2680013 00021F0E
	s_nop 1                                                    // 000000006388: BF800001
	v_permlane16_swap_b32_e32 v16, v18                         // 00000000638C: 7E20B312
	s_nop 1                                                    // 000000006390: BF800001
	v_permlane16_swap_b32_e32 v17, v19                         // 000000006394: 7E22B313
	s_nop 1                                                    // 000000006398: BF800001
	buffer_store_dwordx4 v[16:19], v201, s[4:7], 0 offen       // 00000000639C: E07C1000 800110C9
	v_add_u32_e32 v201, s62, v201                              // 0000000063A4: 6993923E
	v_accvgpr_read_b32 v8, a180                                // 0000000063A8: D3D84008 180001B4
	v_accvgpr_read_b32 v9, a181                                // 0000000063B0: D3D84009 180001B5
	v_accvgpr_read_b32 v10, a182                               // 0000000063B8: D3D8400A 180001B6
	v_accvgpr_read_b32 v11, a183                               // 0000000063C0: D3D8400B 180001B7
	v_accvgpr_read_b32 v12, a188                               // 0000000063C8: D3D8400C 180001BC
	v_accvgpr_read_b32 v13, a189                               // 0000000063D0: D3D8400D 180001BD
	v_accvgpr_read_b32 v14, a190                               // 0000000063D8: D3D8400E 180001BE
	v_accvgpr_read_b32 v15, a191                               // 0000000063E0: D3D8400F 180001BF
	v_cvt_pk_bf16_f32 v16, v8, v9                              // 0000000063E8: D2680010 00021308
	v_cvt_pk_bf16_f32 v17, v10, v11                            // 0000000063F0: D2680011 0002170A
	v_cvt_pk_bf16_f32 v18, v12, v13                            // 0000000063F8: D2680012 00021B0C
	v_cvt_pk_bf16_f32 v19, v14, v15                            // 000000006400: D2680013 00021F0E
	s_nop 1                                                    // 000000006408: BF800001
	v_permlane16_swap_b32_e32 v16, v18                         // 00000000640C: 7E20B312
	s_nop 1                                                    // 000000006410: BF800001
	v_permlane16_swap_b32_e32 v17, v19                         // 000000006414: 7E22B313
	s_nop 1                                                    // 000000006418: BF800001
	buffer_store_dwordx4 v[16:19], v201, s[4:7], 0 offen       // 00000000641C: E07C1000 800110C9
	v_add_u32_e32 v201, s62, v201                              // 000000006424: 6993923E
	s_branch label_111E                                        // 000000006428: BF820313

000000000000642c <label_0E0B>:
	s_mul_i32 s62, s36, 16                                     // 00000000642C: 923E9024
	s_cmp_lt_i32 s60, s44                                      // 000000006430: BF042C3C
	s_cbranch_scc0 label_111E                                  // 000000006434: BF840310
	s_addk_i32 s60, 0x20                                       // 000000006438: B73C0020
	v_add_u32_e32 v201, 0, v197                                // 00000000643C: 69938A80
	v_accvgpr_read_b32 v8, a0                                  // 000000006440: D3D84008 18000100
	v_accvgpr_read_b32 v9, a1                                  // 000000006448: D3D84009 18000101
	v_accvgpr_read_b32 v10, a2                                 // 000000006450: D3D8400A 18000102
	v_accvgpr_read_b32 v11, a3                                 // 000000006458: D3D8400B 18000103
	v_accvgpr_read_b32 v12, a8                                 // 000000006460: D3D8400C 18000108
	v_accvgpr_read_b32 v13, a9                                 // 000000006468: D3D8400D 18000109
	v_accvgpr_read_b32 v14, a10                                // 000000006470: D3D8400E 1800010A
	v_accvgpr_read_b32 v15, a11                                // 000000006478: D3D8400F 1800010B
	v_cvt_pk_bf16_f32 v16, v8, v9                              // 000000006480: D2680010 00021308
	v_cvt_pk_bf16_f32 v17, v10, v11                            // 000000006488: D2680011 0002170A
	v_cvt_pk_bf16_f32 v18, v12, v13                            // 000000006490: D2680012 00021B0C
	v_cvt_pk_bf16_f32 v19, v14, v15                            // 000000006498: D2680013 00021F0E
	s_nop 1                                                    // 0000000064A0: BF800001
	v_permlane16_swap_b32_e32 v16, v18                         // 0000000064A4: 7E20B312
	s_nop 1                                                    // 0000000064A8: BF800001
	v_permlane16_swap_b32_e32 v17, v19                         // 0000000064AC: 7E22B313
	s_nop 1                                                    // 0000000064B0: BF800001
	buffer_store_dwordx4 v[16:19], v201, s[4:7], 0 offen       // 0000000064B4: E07C1000 800110C9
	v_add_u32_e32 v201, s62, v201                              // 0000000064BC: 6993923E
	v_accvgpr_read_b32 v8, a4                                  // 0000000064C0: D3D84008 18000104
	v_accvgpr_read_b32 v9, a5                                  // 0000000064C8: D3D84009 18000105
	v_accvgpr_read_b32 v10, a6                                 // 0000000064D0: D3D8400A 18000106
	v_accvgpr_read_b32 v11, a7                                 // 0000000064D8: D3D8400B 18000107
	v_accvgpr_read_b32 v12, a12                                // 0000000064E0: D3D8400C 1800010C
	v_accvgpr_read_b32 v13, a13                                // 0000000064E8: D3D8400D 1800010D
	v_accvgpr_read_b32 v14, a14                                // 0000000064F0: D3D8400E 1800010E
	v_accvgpr_read_b32 v15, a15                                // 0000000064F8: D3D8400F 1800010F
	v_cvt_pk_bf16_f32 v16, v8, v9                              // 000000006500: D2680010 00021308
	v_cvt_pk_bf16_f32 v17, v10, v11                            // 000000006508: D2680011 0002170A
	v_cvt_pk_bf16_f32 v18, v12, v13                            // 000000006510: D2680012 00021B0C
	v_cvt_pk_bf16_f32 v19, v14, v15                            // 000000006518: D2680013 00021F0E
	s_nop 1                                                    // 000000006520: BF800001
	v_permlane16_swap_b32_e32 v16, v18                         // 000000006524: 7E20B312
	s_nop 1                                                    // 000000006528: BF800001
	v_permlane16_swap_b32_e32 v17, v19                         // 00000000652C: 7E22B313
	s_nop 1                                                    // 000000006530: BF800001
	buffer_store_dwordx4 v[16:19], v201, s[4:7], 0 offen       // 000000006534: E07C1000 800110C9
	v_add_u32_e32 v201, s62, v201                              // 00000000653C: 6993923E
	v_accvgpr_read_b32 v8, a64                                 // 000000006540: D3D84008 18000140
	v_accvgpr_read_b32 v9, a65                                 // 000000006548: D3D84009 18000141
	v_accvgpr_read_b32 v10, a66                                // 000000006550: D3D8400A 18000142
	v_accvgpr_read_b32 v11, a67                                // 000000006558: D3D8400B 18000143
	v_accvgpr_read_b32 v12, a72                                // 000000006560: D3D8400C 18000148
	v_accvgpr_read_b32 v13, a73                                // 000000006568: D3D8400D 18000149
	v_accvgpr_read_b32 v14, a74                                // 000000006570: D3D8400E 1800014A
	v_accvgpr_read_b32 v15, a75                                // 000000006578: D3D8400F 1800014B
	v_cvt_pk_bf16_f32 v16, v8, v9                              // 000000006580: D2680010 00021308
	v_cvt_pk_bf16_f32 v17, v10, v11                            // 000000006588: D2680011 0002170A
	v_cvt_pk_bf16_f32 v18, v12, v13                            // 000000006590: D2680012 00021B0C
	v_cvt_pk_bf16_f32 v19, v14, v15                            // 000000006598: D2680013 00021F0E
	s_nop 1                                                    // 0000000065A0: BF800001
	v_permlane16_swap_b32_e32 v16, v18                         // 0000000065A4: 7E20B312
	s_nop 1                                                    // 0000000065A8: BF800001
	v_permlane16_swap_b32_e32 v17, v19                         // 0000000065AC: 7E22B313
	s_nop 1                                                    // 0000000065B0: BF800001
	buffer_store_dwordx4 v[16:19], v201, s[4:7], 0 offen       // 0000000065B4: E07C1000 800110C9
	v_add_u32_e32 v201, s62, v201                              // 0000000065BC: 6993923E
	v_accvgpr_read_b32 v8, a68                                 // 0000000065C0: D3D84008 18000144
	v_accvgpr_read_b32 v9, a69                                 // 0000000065C8: D3D84009 18000145
	v_accvgpr_read_b32 v10, a70                                // 0000000065D0: D3D8400A 18000146
	v_accvgpr_read_b32 v11, a71                                // 0000000065D8: D3D8400B 18000147
	v_accvgpr_read_b32 v12, a76                                // 0000000065E0: D3D8400C 1800014C
	v_accvgpr_read_b32 v13, a77                                // 0000000065E8: D3D8400D 1800014D
	v_accvgpr_read_b32 v14, a78                                // 0000000065F0: D3D8400E 1800014E
	v_accvgpr_read_b32 v15, a79                                // 0000000065F8: D3D8400F 1800014F
	v_cvt_pk_bf16_f32 v16, v8, v9                              // 000000006600: D2680010 00021308
	v_cvt_pk_bf16_f32 v17, v10, v11                            // 000000006608: D2680011 0002170A
	v_cvt_pk_bf16_f32 v18, v12, v13                            // 000000006610: D2680012 00021B0C
	v_cvt_pk_bf16_f32 v19, v14, v15                            // 000000006618: D2680013 00021F0E
	s_nop 1                                                    // 000000006620: BF800001
	v_permlane16_swap_b32_e32 v16, v18                         // 000000006624: 7E20B312
	s_nop 1                                                    // 000000006628: BF800001
	v_permlane16_swap_b32_e32 v17, v19                         // 00000000662C: 7E22B313
	s_nop 1                                                    // 000000006630: BF800001
	buffer_store_dwordx4 v[16:19], v201, s[4:7], 0 offen       // 000000006634: E07C1000 800110C9
	v_add_u32_e32 v201, s62, v201                              // 00000000663C: 6993923E
	v_accvgpr_read_b32 v8, a128                                // 000000006640: D3D84008 18000180
	v_accvgpr_read_b32 v9, a129                                // 000000006648: D3D84009 18000181
	v_accvgpr_read_b32 v10, a130                               // 000000006650: D3D8400A 18000182
	v_accvgpr_read_b32 v11, a131                               // 000000006658: D3D8400B 18000183
	v_accvgpr_read_b32 v12, a136                               // 000000006660: D3D8400C 18000188
	v_accvgpr_read_b32 v13, a137                               // 000000006668: D3D8400D 18000189
	v_accvgpr_read_b32 v14, a138                               // 000000006670: D3D8400E 1800018A
	v_accvgpr_read_b32 v15, a139                               // 000000006678: D3D8400F 1800018B
	v_cvt_pk_bf16_f32 v16, v8, v9                              // 000000006680: D2680010 00021308
	v_cvt_pk_bf16_f32 v17, v10, v11                            // 000000006688: D2680011 0002170A
	v_cvt_pk_bf16_f32 v18, v12, v13                            // 000000006690: D2680012 00021B0C
	v_cvt_pk_bf16_f32 v19, v14, v15                            // 000000006698: D2680013 00021F0E
	s_nop 1                                                    // 0000000066A0: BF800001
	v_permlane16_swap_b32_e32 v16, v18                         // 0000000066A4: 7E20B312
	s_nop 1                                                    // 0000000066A8: BF800001
	v_permlane16_swap_b32_e32 v17, v19                         // 0000000066AC: 7E22B313
	s_nop 1                                                    // 0000000066B0: BF800001
	buffer_store_dwordx4 v[16:19], v201, s[4:7], 0 offen       // 0000000066B4: E07C1000 800110C9
	v_add_u32_e32 v201, s62, v201                              // 0000000066BC: 6993923E
	v_accvgpr_read_b32 v8, a132                                // 0000000066C0: D3D84008 18000184
	v_accvgpr_read_b32 v9, a133                                // 0000000066C8: D3D84009 18000185
	v_accvgpr_read_b32 v10, a134                               // 0000000066D0: D3D8400A 18000186
	v_accvgpr_read_b32 v11, a135                               // 0000000066D8: D3D8400B 18000187
	v_accvgpr_read_b32 v12, a140                               // 0000000066E0: D3D8400C 1800018C
	v_accvgpr_read_b32 v13, a141                               // 0000000066E8: D3D8400D 1800018D
	v_accvgpr_read_b32 v14, a142                               // 0000000066F0: D3D8400E 1800018E
	v_accvgpr_read_b32 v15, a143                               // 0000000066F8: D3D8400F 1800018F
	v_cvt_pk_bf16_f32 v16, v8, v9                              // 000000006700: D2680010 00021308
	v_cvt_pk_bf16_f32 v17, v10, v11                            // 000000006708: D2680011 0002170A
	v_cvt_pk_bf16_f32 v18, v12, v13                            // 000000006710: D2680012 00021B0C
	v_cvt_pk_bf16_f32 v19, v14, v15                            // 000000006718: D2680013 00021F0E
	s_nop 1                                                    // 000000006720: BF800001
	v_permlane16_swap_b32_e32 v16, v18                         // 000000006724: 7E20B312
	s_nop 1                                                    // 000000006728: BF800001
	v_permlane16_swap_b32_e32 v17, v19                         // 00000000672C: 7E22B313
	s_nop 1                                                    // 000000006730: BF800001
	buffer_store_dwordx4 v[16:19], v201, s[4:7], 0 offen       // 000000006734: E07C1000 800110C9
	v_add_u32_e32 v201, s62, v201                              // 00000000673C: 6993923E
	s_cmp_lt_i32 s60, s44                                      // 000000006740: BF042C3C
	s_cbranch_scc0 label_111E                                  // 000000006744: BF84024C
	s_addk_i32 s60, 0x20                                       // 000000006748: B73C0020
	v_add_u32_e32 v201, 64, v197                               // 00000000674C: 69938AC0
	v_accvgpr_read_b32 v8, a16                                 // 000000006750: D3D84008 18000110
	v_accvgpr_read_b32 v9, a17                                 // 000000006758: D3D84009 18000111
	v_accvgpr_read_b32 v10, a18                                // 000000006760: D3D8400A 18000112
	v_accvgpr_read_b32 v11, a19                                // 000000006768: D3D8400B 18000113
	v_accvgpr_read_b32 v12, a24                                // 000000006770: D3D8400C 18000118
	v_accvgpr_read_b32 v13, a25                                // 000000006778: D3D8400D 18000119
	v_accvgpr_read_b32 v14, a26                                // 000000006780: D3D8400E 1800011A
	v_accvgpr_read_b32 v15, a27                                // 000000006788: D3D8400F 1800011B
	v_cvt_pk_bf16_f32 v16, v8, v9                              // 000000006790: D2680010 00021308
	v_cvt_pk_bf16_f32 v17, v10, v11                            // 000000006798: D2680011 0002170A
	v_cvt_pk_bf16_f32 v18, v12, v13                            // 0000000067A0: D2680012 00021B0C
	v_cvt_pk_bf16_f32 v19, v14, v15                            // 0000000067A8: D2680013 00021F0E
	s_nop 1                                                    // 0000000067B0: BF800001
	v_permlane16_swap_b32_e32 v16, v18                         // 0000000067B4: 7E20B312
	s_nop 1                                                    // 0000000067B8: BF800001
	v_permlane16_swap_b32_e32 v17, v19                         // 0000000067BC: 7E22B313
	s_nop 1                                                    // 0000000067C0: BF800001
	buffer_store_dwordx4 v[16:19], v201, s[4:7], 0 offen       // 0000000067C4: E07C1000 800110C9
	v_add_u32_e32 v201, s62, v201                              // 0000000067CC: 6993923E
	v_accvgpr_read_b32 v8, a20                                 // 0000000067D0: D3D84008 18000114
	v_accvgpr_read_b32 v9, a21                                 // 0000000067D8: D3D84009 18000115
	v_accvgpr_read_b32 v10, a22                                // 0000000067E0: D3D8400A 18000116
	v_accvgpr_read_b32 v11, a23                                // 0000000067E8: D3D8400B 18000117
	v_accvgpr_read_b32 v12, a28                                // 0000000067F0: D3D8400C 1800011C
	v_accvgpr_read_b32 v13, a29                                // 0000000067F8: D3D8400D 1800011D
	v_accvgpr_read_b32 v14, a30                                // 000000006800: D3D8400E 1800011E
	v_accvgpr_read_b32 v15, a31                                // 000000006808: D3D8400F 1800011F
	v_cvt_pk_bf16_f32 v16, v8, v9                              // 000000006810: D2680010 00021308
	v_cvt_pk_bf16_f32 v17, v10, v11                            // 000000006818: D2680011 0002170A
	v_cvt_pk_bf16_f32 v18, v12, v13                            // 000000006820: D2680012 00021B0C
	v_cvt_pk_bf16_f32 v19, v14, v15                            // 000000006828: D2680013 00021F0E
	s_nop 1                                                    // 000000006830: BF800001
	v_permlane16_swap_b32_e32 v16, v18                         // 000000006834: 7E20B312
	s_nop 1                                                    // 000000006838: BF800001
	v_permlane16_swap_b32_e32 v17, v19                         // 00000000683C: 7E22B313
	s_nop 1                                                    // 000000006840: BF800001
	buffer_store_dwordx4 v[16:19], v201, s[4:7], 0 offen       // 000000006844: E07C1000 800110C9
	v_add_u32_e32 v201, s62, v201                              // 00000000684C: 6993923E
	v_accvgpr_read_b32 v8, a80                                 // 000000006850: D3D84008 18000150
	v_accvgpr_read_b32 v9, a81                                 // 000000006858: D3D84009 18000151
	v_accvgpr_read_b32 v10, a82                                // 000000006860: D3D8400A 18000152
	v_accvgpr_read_b32 v11, a83                                // 000000006868: D3D8400B 18000153
	v_accvgpr_read_b32 v12, a88                                // 000000006870: D3D8400C 18000158
	v_accvgpr_read_b32 v13, a89                                // 000000006878: D3D8400D 18000159
	v_accvgpr_read_b32 v14, a90                                // 000000006880: D3D8400E 1800015A
	v_accvgpr_read_b32 v15, a91                                // 000000006888: D3D8400F 1800015B
	v_cvt_pk_bf16_f32 v16, v8, v9                              // 000000006890: D2680010 00021308
	v_cvt_pk_bf16_f32 v17, v10, v11                            // 000000006898: D2680011 0002170A
	v_cvt_pk_bf16_f32 v18, v12, v13                            // 0000000068A0: D2680012 00021B0C
	v_cvt_pk_bf16_f32 v19, v14, v15                            // 0000000068A8: D2680013 00021F0E
	s_nop 1                                                    // 0000000068B0: BF800001
	v_permlane16_swap_b32_e32 v16, v18                         // 0000000068B4: 7E20B312
	s_nop 1                                                    // 0000000068B8: BF800001
	v_permlane16_swap_b32_e32 v17, v19                         // 0000000068BC: 7E22B313
	s_nop 1                                                    // 0000000068C0: BF800001
	buffer_store_dwordx4 v[16:19], v201, s[4:7], 0 offen       // 0000000068C4: E07C1000 800110C9
	v_add_u32_e32 v201, s62, v201                              // 0000000068CC: 6993923E
	v_accvgpr_read_b32 v8, a84                                 // 0000000068D0: D3D84008 18000154
	v_accvgpr_read_b32 v9, a85                                 // 0000000068D8: D3D84009 18000155
	v_accvgpr_read_b32 v10, a86                                // 0000000068E0: D3D8400A 18000156
	v_accvgpr_read_b32 v11, a87                                // 0000000068E8: D3D8400B 18000157
	v_accvgpr_read_b32 v12, a92                                // 0000000068F0: D3D8400C 1800015C
	v_accvgpr_read_b32 v13, a93                                // 0000000068F8: D3D8400D 1800015D
	v_accvgpr_read_b32 v14, a94                                // 000000006900: D3D8400E 1800015E
	v_accvgpr_read_b32 v15, a95                                // 000000006908: D3D8400F 1800015F
	v_cvt_pk_bf16_f32 v16, v8, v9                              // 000000006910: D2680010 00021308
	v_cvt_pk_bf16_f32 v17, v10, v11                            // 000000006918: D2680011 0002170A
	v_cvt_pk_bf16_f32 v18, v12, v13                            // 000000006920: D2680012 00021B0C
	v_cvt_pk_bf16_f32 v19, v14, v15                            // 000000006928: D2680013 00021F0E
	s_nop 1                                                    // 000000006930: BF800001
	v_permlane16_swap_b32_e32 v16, v18                         // 000000006934: 7E20B312
	s_nop 1                                                    // 000000006938: BF800001
	v_permlane16_swap_b32_e32 v17, v19                         // 00000000693C: 7E22B313
	s_nop 1                                                    // 000000006940: BF800001
	buffer_store_dwordx4 v[16:19], v201, s[4:7], 0 offen       // 000000006944: E07C1000 800110C9
	v_add_u32_e32 v201, s62, v201                              // 00000000694C: 6993923E
	v_accvgpr_read_b32 v8, a144                                // 000000006950: D3D84008 18000190
	v_accvgpr_read_b32 v9, a145                                // 000000006958: D3D84009 18000191
	v_accvgpr_read_b32 v10, a146                               // 000000006960: D3D8400A 18000192
	v_accvgpr_read_b32 v11, a147                               // 000000006968: D3D8400B 18000193
	v_accvgpr_read_b32 v12, a152                               // 000000006970: D3D8400C 18000198
	v_accvgpr_read_b32 v13, a153                               // 000000006978: D3D8400D 18000199
	v_accvgpr_read_b32 v14, a154                               // 000000006980: D3D8400E 1800019A
	v_accvgpr_read_b32 v15, a155                               // 000000006988: D3D8400F 1800019B
	v_cvt_pk_bf16_f32 v16, v8, v9                              // 000000006990: D2680010 00021308
	v_cvt_pk_bf16_f32 v17, v10, v11                            // 000000006998: D2680011 0002170A
	v_cvt_pk_bf16_f32 v18, v12, v13                            // 0000000069A0: D2680012 00021B0C
	v_cvt_pk_bf16_f32 v19, v14, v15                            // 0000000069A8: D2680013 00021F0E
	s_nop 1                                                    // 0000000069B0: BF800001
	v_permlane16_swap_b32_e32 v16, v18                         // 0000000069B4: 7E20B312
	s_nop 1                                                    // 0000000069B8: BF800001
	v_permlane16_swap_b32_e32 v17, v19                         // 0000000069BC: 7E22B313
	s_nop 1                                                    // 0000000069C0: BF800001
	buffer_store_dwordx4 v[16:19], v201, s[4:7], 0 offen       // 0000000069C4: E07C1000 800110C9
	v_add_u32_e32 v201, s62, v201                              // 0000000069CC: 6993923E
	v_accvgpr_read_b32 v8, a148                                // 0000000069D0: D3D84008 18000194
	v_accvgpr_read_b32 v9, a149                                // 0000000069D8: D3D84009 18000195
	v_accvgpr_read_b32 v10, a150                               // 0000000069E0: D3D8400A 18000196
	v_accvgpr_read_b32 v11, a151                               // 0000000069E8: D3D8400B 18000197
	v_accvgpr_read_b32 v12, a156                               // 0000000069F0: D3D8400C 1800019C
	v_accvgpr_read_b32 v13, a157                               // 0000000069F8: D3D8400D 1800019D
	v_accvgpr_read_b32 v14, a158                               // 000000006A00: D3D8400E 1800019E
	v_accvgpr_read_b32 v15, a159                               // 000000006A08: D3D8400F 1800019F
	v_cvt_pk_bf16_f32 v16, v8, v9                              // 000000006A10: D2680010 00021308
	v_cvt_pk_bf16_f32 v17, v10, v11                            // 000000006A18: D2680011 0002170A
	v_cvt_pk_bf16_f32 v18, v12, v13                            // 000000006A20: D2680012 00021B0C
	v_cvt_pk_bf16_f32 v19, v14, v15                            // 000000006A28: D2680013 00021F0E
	s_nop 1                                                    // 000000006A30: BF800001
	v_permlane16_swap_b32_e32 v16, v18                         // 000000006A34: 7E20B312
	s_nop 1                                                    // 000000006A38: BF800001
	v_permlane16_swap_b32_e32 v17, v19                         // 000000006A3C: 7E22B313
	s_nop 1                                                    // 000000006A40: BF800001
	buffer_store_dwordx4 v[16:19], v201, s[4:7], 0 offen       // 000000006A44: E07C1000 800110C9
	v_add_u32_e32 v201, s62, v201                              // 000000006A4C: 6993923E
	s_cmp_lt_i32 s60, s44                                      // 000000006A50: BF042C3C
	s_cbranch_scc0 label_111E                                  // 000000006A54: BF840188
	s_addk_i32 s60, 0x20                                       // 000000006A58: B73C0020
	v_add_u32_e32 v201, 0x80, v197                             // 000000006A5C: 69938AFF 00000080
	v_accvgpr_read_b32 v8, a32                                 // 000000006A64: D3D84008 18000120
	v_accvgpr_read_b32 v9, a33                                 // 000000006A6C: D3D84009 18000121
	v_accvgpr_read_b32 v10, a34                                // 000000006A74: D3D8400A 18000122
	v_accvgpr_read_b32 v11, a35                                // 000000006A7C: D3D8400B 18000123
	v_accvgpr_read_b32 v12, a40                                // 000000006A84: D3D8400C 18000128
	v_accvgpr_read_b32 v13, a41                                // 000000006A8C: D3D8400D 18000129
	v_accvgpr_read_b32 v14, a42                                // 000000006A94: D3D8400E 1800012A
	v_accvgpr_read_b32 v15, a43                                // 000000006A9C: D3D8400F 1800012B
	v_cvt_pk_bf16_f32 v16, v8, v9                              // 000000006AA4: D2680010 00021308
	v_cvt_pk_bf16_f32 v17, v10, v11                            // 000000006AAC: D2680011 0002170A
	v_cvt_pk_bf16_f32 v18, v12, v13                            // 000000006AB4: D2680012 00021B0C
	v_cvt_pk_bf16_f32 v19, v14, v15                            // 000000006ABC: D2680013 00021F0E
	s_nop 1                                                    // 000000006AC4: BF800001
	v_permlane16_swap_b32_e32 v16, v18                         // 000000006AC8: 7E20B312
	s_nop 1                                                    // 000000006ACC: BF800001
	v_permlane16_swap_b32_e32 v17, v19                         // 000000006AD0: 7E22B313
	s_nop 1                                                    // 000000006AD4: BF800001
	buffer_store_dwordx4 v[16:19], v201, s[4:7], 0 offen       // 000000006AD8: E07C1000 800110C9
	v_add_u32_e32 v201, s62, v201                              // 000000006AE0: 6993923E
	v_accvgpr_read_b32 v8, a36                                 // 000000006AE4: D3D84008 18000124
	v_accvgpr_read_b32 v9, a37                                 // 000000006AEC: D3D84009 18000125
	v_accvgpr_read_b32 v10, a38                                // 000000006AF4: D3D8400A 18000126
	v_accvgpr_read_b32 v11, a39                                // 000000006AFC: D3D8400B 18000127
	v_accvgpr_read_b32 v12, a44                                // 000000006B04: D3D8400C 1800012C
	v_accvgpr_read_b32 v13, a45                                // 000000006B0C: D3D8400D 1800012D
	v_accvgpr_read_b32 v14, a46                                // 000000006B14: D3D8400E 1800012E
	v_accvgpr_read_b32 v15, a47                                // 000000006B1C: D3D8400F 1800012F
	v_cvt_pk_bf16_f32 v16, v8, v9                              // 000000006B24: D2680010 00021308
	v_cvt_pk_bf16_f32 v17, v10, v11                            // 000000006B2C: D2680011 0002170A
	v_cvt_pk_bf16_f32 v18, v12, v13                            // 000000006B34: D2680012 00021B0C
	v_cvt_pk_bf16_f32 v19, v14, v15                            // 000000006B3C: D2680013 00021F0E
	s_nop 1                                                    // 000000006B44: BF800001
	v_permlane16_swap_b32_e32 v16, v18                         // 000000006B48: 7E20B312
	s_nop 1                                                    // 000000006B4C: BF800001
	v_permlane16_swap_b32_e32 v17, v19                         // 000000006B50: 7E22B313
	s_nop 1                                                    // 000000006B54: BF800001
	buffer_store_dwordx4 v[16:19], v201, s[4:7], 0 offen       // 000000006B58: E07C1000 800110C9
	v_add_u32_e32 v201, s62, v201                              // 000000006B60: 6993923E
	v_accvgpr_read_b32 v8, a96                                 // 000000006B64: D3D84008 18000160
	v_accvgpr_read_b32 v9, a97                                 // 000000006B6C: D3D84009 18000161
	v_accvgpr_read_b32 v10, a98                                // 000000006B74: D3D8400A 18000162
	v_accvgpr_read_b32 v11, a99                                // 000000006B7C: D3D8400B 18000163
	v_accvgpr_read_b32 v12, a104                               // 000000006B84: D3D8400C 18000168
	v_accvgpr_read_b32 v13, a105                               // 000000006B8C: D3D8400D 18000169
	v_accvgpr_read_b32 v14, a106                               // 000000006B94: D3D8400E 1800016A
	v_accvgpr_read_b32 v15, a107                               // 000000006B9C: D3D8400F 1800016B
	v_cvt_pk_bf16_f32 v16, v8, v9                              // 000000006BA4: D2680010 00021308
	v_cvt_pk_bf16_f32 v17, v10, v11                            // 000000006BAC: D2680011 0002170A
	v_cvt_pk_bf16_f32 v18, v12, v13                            // 000000006BB4: D2680012 00021B0C
	v_cvt_pk_bf16_f32 v19, v14, v15                            // 000000006BBC: D2680013 00021F0E
	s_nop 1                                                    // 000000006BC4: BF800001
	v_permlane16_swap_b32_e32 v16, v18                         // 000000006BC8: 7E20B312
	s_nop 1                                                    // 000000006BCC: BF800001
	v_permlane16_swap_b32_e32 v17, v19                         // 000000006BD0: 7E22B313
	s_nop 1                                                    // 000000006BD4: BF800001
	buffer_store_dwordx4 v[16:19], v201, s[4:7], 0 offen       // 000000006BD8: E07C1000 800110C9
	v_add_u32_e32 v201, s62, v201                              // 000000006BE0: 6993923E
	v_accvgpr_read_b32 v8, a100                                // 000000006BE4: D3D84008 18000164
	v_accvgpr_read_b32 v9, a101                                // 000000006BEC: D3D84009 18000165
	v_accvgpr_read_b32 v10, a102                               // 000000006BF4: D3D8400A 18000166
	v_accvgpr_read_b32 v11, a103                               // 000000006BFC: D3D8400B 18000167
	v_accvgpr_read_b32 v12, a108                               // 000000006C04: D3D8400C 1800016C
	v_accvgpr_read_b32 v13, a109                               // 000000006C0C: D3D8400D 1800016D
	v_accvgpr_read_b32 v14, a110                               // 000000006C14: D3D8400E 1800016E
	v_accvgpr_read_b32 v15, a111                               // 000000006C1C: D3D8400F 1800016F
	v_cvt_pk_bf16_f32 v16, v8, v9                              // 000000006C24: D2680010 00021308
	v_cvt_pk_bf16_f32 v17, v10, v11                            // 000000006C2C: D2680011 0002170A
	v_cvt_pk_bf16_f32 v18, v12, v13                            // 000000006C34: D2680012 00021B0C
	v_cvt_pk_bf16_f32 v19, v14, v15                            // 000000006C3C: D2680013 00021F0E
	s_nop 1                                                    // 000000006C44: BF800001
	v_permlane16_swap_b32_e32 v16, v18                         // 000000006C48: 7E20B312
	s_nop 1                                                    // 000000006C4C: BF800001
	v_permlane16_swap_b32_e32 v17, v19                         // 000000006C50: 7E22B313
	s_nop 1                                                    // 000000006C54: BF800001
	buffer_store_dwordx4 v[16:19], v201, s[4:7], 0 offen       // 000000006C58: E07C1000 800110C9
	v_add_u32_e32 v201, s62, v201                              // 000000006C60: 6993923E
	v_accvgpr_read_b32 v8, a160                                // 000000006C64: D3D84008 180001A0
	v_accvgpr_read_b32 v9, a161                                // 000000006C6C: D3D84009 180001A1
	v_accvgpr_read_b32 v10, a162                               // 000000006C74: D3D8400A 180001A2
	v_accvgpr_read_b32 v11, a163                               // 000000006C7C: D3D8400B 180001A3
	v_accvgpr_read_b32 v12, a168                               // 000000006C84: D3D8400C 180001A8
	v_accvgpr_read_b32 v13, a169                               // 000000006C8C: D3D8400D 180001A9
	v_accvgpr_read_b32 v14, a170                               // 000000006C94: D3D8400E 180001AA
	v_accvgpr_read_b32 v15, a171                               // 000000006C9C: D3D8400F 180001AB
	v_cvt_pk_bf16_f32 v16, v8, v9                              // 000000006CA4: D2680010 00021308
	v_cvt_pk_bf16_f32 v17, v10, v11                            // 000000006CAC: D2680011 0002170A
	v_cvt_pk_bf16_f32 v18, v12, v13                            // 000000006CB4: D2680012 00021B0C
	v_cvt_pk_bf16_f32 v19, v14, v15                            // 000000006CBC: D2680013 00021F0E
	s_nop 1                                                    // 000000006CC4: BF800001
	v_permlane16_swap_b32_e32 v16, v18                         // 000000006CC8: 7E20B312
	s_nop 1                                                    // 000000006CCC: BF800001
	v_permlane16_swap_b32_e32 v17, v19                         // 000000006CD0: 7E22B313
	s_nop 1                                                    // 000000006CD4: BF800001
	buffer_store_dwordx4 v[16:19], v201, s[4:7], 0 offen       // 000000006CD8: E07C1000 800110C9
	v_add_u32_e32 v201, s62, v201                              // 000000006CE0: 6993923E
	v_accvgpr_read_b32 v8, a164                                // 000000006CE4: D3D84008 180001A4
	v_accvgpr_read_b32 v9, a165                                // 000000006CEC: D3D84009 180001A5
	v_accvgpr_read_b32 v10, a166                               // 000000006CF4: D3D8400A 180001A6
	v_accvgpr_read_b32 v11, a167                               // 000000006CFC: D3D8400B 180001A7
	v_accvgpr_read_b32 v12, a172                               // 000000006D04: D3D8400C 180001AC
	v_accvgpr_read_b32 v13, a173                               // 000000006D0C: D3D8400D 180001AD
	v_accvgpr_read_b32 v14, a174                               // 000000006D14: D3D8400E 180001AE
	v_accvgpr_read_b32 v15, a175                               // 000000006D1C: D3D8400F 180001AF
	v_cvt_pk_bf16_f32 v16, v8, v9                              // 000000006D24: D2680010 00021308
	v_cvt_pk_bf16_f32 v17, v10, v11                            // 000000006D2C: D2680011 0002170A
	v_cvt_pk_bf16_f32 v18, v12, v13                            // 000000006D34: D2680012 00021B0C
	v_cvt_pk_bf16_f32 v19, v14, v15                            // 000000006D3C: D2680013 00021F0E
	s_nop 1                                                    // 000000006D44: BF800001
	v_permlane16_swap_b32_e32 v16, v18                         // 000000006D48: 7E20B312
	s_nop 1                                                    // 000000006D4C: BF800001
	v_permlane16_swap_b32_e32 v17, v19                         // 000000006D50: 7E22B313
	s_nop 1                                                    // 000000006D54: BF800001
	buffer_store_dwordx4 v[16:19], v201, s[4:7], 0 offen       // 000000006D58: E07C1000 800110C9
	v_add_u32_e32 v201, s62, v201                              // 000000006D60: 6993923E
	s_cmp_lt_i32 s60, s44                                      // 000000006D64: BF042C3C
	s_cbranch_scc0 label_111E                                  // 000000006D68: BF8400C3
	s_addk_i32 s60, 0x20                                       // 000000006D6C: B73C0020
	v_add_u32_e32 v201, 0xc0, v197                             // 000000006D70: 69938AFF 000000C0
	v_accvgpr_read_b32 v8, a48                                 // 000000006D78: D3D84008 18000130
	v_accvgpr_read_b32 v9, a49                                 // 000000006D80: D3D84009 18000131
	v_accvgpr_read_b32 v10, a50                                // 000000006D88: D3D8400A 18000132
	v_accvgpr_read_b32 v11, a51                                // 000000006D90: D3D8400B 18000133
	v_accvgpr_read_b32 v12, a56                                // 000000006D98: D3D8400C 18000138
	v_accvgpr_read_b32 v13, a57                                // 000000006DA0: D3D8400D 18000139
	v_accvgpr_read_b32 v14, a58                                // 000000006DA8: D3D8400E 1800013A
	v_accvgpr_read_b32 v15, a59                                // 000000006DB0: D3D8400F 1800013B
	v_cvt_pk_bf16_f32 v16, v8, v9                              // 000000006DB8: D2680010 00021308
	v_cvt_pk_bf16_f32 v17, v10, v11                            // 000000006DC0: D2680011 0002170A
	v_cvt_pk_bf16_f32 v18, v12, v13                            // 000000006DC8: D2680012 00021B0C
	v_cvt_pk_bf16_f32 v19, v14, v15                            // 000000006DD0: D2680013 00021F0E
	s_nop 1                                                    // 000000006DD8: BF800001
	v_permlane16_swap_b32_e32 v16, v18                         // 000000006DDC: 7E20B312
	s_nop 1                                                    // 000000006DE0: BF800001
	v_permlane16_swap_b32_e32 v17, v19                         // 000000006DE4: 7E22B313
	s_nop 1                                                    // 000000006DE8: BF800001
	buffer_store_dwordx4 v[16:19], v201, s[4:7], 0 offen       // 000000006DEC: E07C1000 800110C9
	v_add_u32_e32 v201, s62, v201                              // 000000006DF4: 6993923E
	v_accvgpr_read_b32 v8, a52                                 // 000000006DF8: D3D84008 18000134
	v_accvgpr_read_b32 v9, a53                                 // 000000006E00: D3D84009 18000135
	v_accvgpr_read_b32 v10, a54                                // 000000006E08: D3D8400A 18000136
	v_accvgpr_read_b32 v11, a55                                // 000000006E10: D3D8400B 18000137
	v_accvgpr_read_b32 v12, a60                                // 000000006E18: D3D8400C 1800013C
	v_accvgpr_read_b32 v13, a61                                // 000000006E20: D3D8400D 1800013D
	v_accvgpr_read_b32 v14, a62                                // 000000006E28: D3D8400E 1800013E
	v_accvgpr_read_b32 v15, a63                                // 000000006E30: D3D8400F 1800013F
	v_cvt_pk_bf16_f32 v16, v8, v9                              // 000000006E38: D2680010 00021308
	v_cvt_pk_bf16_f32 v17, v10, v11                            // 000000006E40: D2680011 0002170A
	v_cvt_pk_bf16_f32 v18, v12, v13                            // 000000006E48: D2680012 00021B0C
	v_cvt_pk_bf16_f32 v19, v14, v15                            // 000000006E50: D2680013 00021F0E
	s_nop 1                                                    // 000000006E58: BF800001
	v_permlane16_swap_b32_e32 v16, v18                         // 000000006E5C: 7E20B312
	s_nop 1                                                    // 000000006E60: BF800001
	v_permlane16_swap_b32_e32 v17, v19                         // 000000006E64: 7E22B313
	s_nop 1                                                    // 000000006E68: BF800001
	buffer_store_dwordx4 v[16:19], v201, s[4:7], 0 offen       // 000000006E6C: E07C1000 800110C9
	v_add_u32_e32 v201, s62, v201                              // 000000006E74: 6993923E
	v_accvgpr_read_b32 v8, a112                                // 000000006E78: D3D84008 18000170
	v_accvgpr_read_b32 v9, a113                                // 000000006E80: D3D84009 18000171
	v_accvgpr_read_b32 v10, a114                               // 000000006E88: D3D8400A 18000172
	v_accvgpr_read_b32 v11, a115                               // 000000006E90: D3D8400B 18000173
	v_accvgpr_read_b32 v12, a120                               // 000000006E98: D3D8400C 18000178
	v_accvgpr_read_b32 v13, a121                               // 000000006EA0: D3D8400D 18000179
	v_accvgpr_read_b32 v14, a122                               // 000000006EA8: D3D8400E 1800017A
	v_accvgpr_read_b32 v15, a123                               // 000000006EB0: D3D8400F 1800017B
	v_cvt_pk_bf16_f32 v16, v8, v9                              // 000000006EB8: D2680010 00021308
	v_cvt_pk_bf16_f32 v17, v10, v11                            // 000000006EC0: D2680011 0002170A
	v_cvt_pk_bf16_f32 v18, v12, v13                            // 000000006EC8: D2680012 00021B0C
	v_cvt_pk_bf16_f32 v19, v14, v15                            // 000000006ED0: D2680013 00021F0E
	s_nop 1                                                    // 000000006ED8: BF800001
	v_permlane16_swap_b32_e32 v16, v18                         // 000000006EDC: 7E20B312
	s_nop 1                                                    // 000000006EE0: BF800001
	v_permlane16_swap_b32_e32 v17, v19                         // 000000006EE4: 7E22B313
	s_nop 1                                                    // 000000006EE8: BF800001
	buffer_store_dwordx4 v[16:19], v201, s[4:7], 0 offen       // 000000006EEC: E07C1000 800110C9
	v_add_u32_e32 v201, s62, v201                              // 000000006EF4: 6993923E
	v_accvgpr_read_b32 v8, a116                                // 000000006EF8: D3D84008 18000174
	v_accvgpr_read_b32 v9, a117                                // 000000006F00: D3D84009 18000175
	v_accvgpr_read_b32 v10, a118                               // 000000006F08: D3D8400A 18000176
	v_accvgpr_read_b32 v11, a119                               // 000000006F10: D3D8400B 18000177
	v_accvgpr_read_b32 v12, a124                               // 000000006F18: D3D8400C 1800017C
	v_accvgpr_read_b32 v13, a125                               // 000000006F20: D3D8400D 1800017D
	v_accvgpr_read_b32 v14, a126                               // 000000006F28: D3D8400E 1800017E
	v_accvgpr_read_b32 v15, a127                               // 000000006F30: D3D8400F 1800017F
	v_cvt_pk_bf16_f32 v16, v8, v9                              // 000000006F38: D2680010 00021308
	v_cvt_pk_bf16_f32 v17, v10, v11                            // 000000006F40: D2680011 0002170A
	v_cvt_pk_bf16_f32 v18, v12, v13                            // 000000006F48: D2680012 00021B0C
	v_cvt_pk_bf16_f32 v19, v14, v15                            // 000000006F50: D2680013 00021F0E
	s_nop 1                                                    // 000000006F58: BF800001
	v_permlane16_swap_b32_e32 v16, v18                         // 000000006F5C: 7E20B312
	s_nop 1                                                    // 000000006F60: BF800001
	v_permlane16_swap_b32_e32 v17, v19                         // 000000006F64: 7E22B313
	s_nop 1                                                    // 000000006F68: BF800001
	buffer_store_dwordx4 v[16:19], v201, s[4:7], 0 offen       // 000000006F6C: E07C1000 800110C9
	v_add_u32_e32 v201, s62, v201                              // 000000006F74: 6993923E
	v_accvgpr_read_b32 v8, a176                                // 000000006F78: D3D84008 180001B0
	v_accvgpr_read_b32 v9, a177                                // 000000006F80: D3D84009 180001B1
	v_accvgpr_read_b32 v10, a178                               // 000000006F88: D3D8400A 180001B2
	v_accvgpr_read_b32 v11, a179                               // 000000006F90: D3D8400B 180001B3
	v_accvgpr_read_b32 v12, a184                               // 000000006F98: D3D8400C 180001B8
	v_accvgpr_read_b32 v13, a185                               // 000000006FA0: D3D8400D 180001B9
	v_accvgpr_read_b32 v14, a186                               // 000000006FA8: D3D8400E 180001BA
	v_accvgpr_read_b32 v15, a187                               // 000000006FB0: D3D8400F 180001BB
	v_cvt_pk_bf16_f32 v16, v8, v9                              // 000000006FB8: D2680010 00021308
	v_cvt_pk_bf16_f32 v17, v10, v11                            // 000000006FC0: D2680011 0002170A
	v_cvt_pk_bf16_f32 v18, v12, v13                            // 000000006FC8: D2680012 00021B0C
	v_cvt_pk_bf16_f32 v19, v14, v15                            // 000000006FD0: D2680013 00021F0E
	s_nop 1                                                    // 000000006FD8: BF800001
	v_permlane16_swap_b32_e32 v16, v18                         // 000000006FDC: 7E20B312
	s_nop 1                                                    // 000000006FE0: BF800001
	v_permlane16_swap_b32_e32 v17, v19                         // 000000006FE4: 7E22B313
	s_nop 1                                                    // 000000006FE8: BF800001
	buffer_store_dwordx4 v[16:19], v201, s[4:7], 0 offen       // 000000006FEC: E07C1000 800110C9
	v_add_u32_e32 v201, s62, v201                              // 000000006FF4: 6993923E
	v_accvgpr_read_b32 v8, a180                                // 000000006FF8: D3D84008 180001B4
	v_accvgpr_read_b32 v9, a181                                // 000000007000: D3D84009 180001B5
	v_accvgpr_read_b32 v10, a182                               // 000000007008: D3D8400A 180001B6
	v_accvgpr_read_b32 v11, a183                               // 000000007010: D3D8400B 180001B7
	v_accvgpr_read_b32 v12, a188                               // 000000007018: D3D8400C 180001BC
	v_accvgpr_read_b32 v13, a189                               // 000000007020: D3D8400D 180001BD
	v_accvgpr_read_b32 v14, a190                               // 000000007028: D3D8400E 180001BE
	v_accvgpr_read_b32 v15, a191                               // 000000007030: D3D8400F 180001BF
	v_cvt_pk_bf16_f32 v16, v8, v9                              // 000000007038: D2680010 00021308
	v_cvt_pk_bf16_f32 v17, v10, v11                            // 000000007040: D2680011 0002170A
	v_cvt_pk_bf16_f32 v18, v12, v13                            // 000000007048: D2680012 00021B0C
	v_cvt_pk_bf16_f32 v19, v14, v15                            // 000000007050: D2680013 00021F0E
	s_nop 1                                                    // 000000007058: BF800001
	v_permlane16_swap_b32_e32 v16, v18                         // 00000000705C: 7E20B312
	s_nop 1                                                    // 000000007060: BF800001
	v_permlane16_swap_b32_e32 v17, v19                         // 000000007064: 7E22B313
	s_nop 1                                                    // 000000007068: BF800001
	buffer_store_dwordx4 v[16:19], v201, s[4:7], 0 offen       // 00000000706C: E07C1000 800110C9
	v_add_u32_e32 v201, s62, v201                              // 000000007074: 6993923E

0000000000007078 <label_111E>:
	s_waitcnt vmcnt(0) expcnt(0) lgkmcnt(0)                    // 000000007078: BF8C0000
	s_endpgm                                                   // 00000000707C: BF810000
